;; amdgpu-corpus repo=ROCm/rocFFT kind=compiled arch=gfx1030 opt=O3
	.text
	.amdgcn_target "amdgcn-amd-amdhsa--gfx1030"
	.amdhsa_code_object_version 6
	.protected	bluestein_single_back_len1620_dim1_dp_op_CI_CI ; -- Begin function bluestein_single_back_len1620_dim1_dp_op_CI_CI
	.globl	bluestein_single_back_len1620_dim1_dp_op_CI_CI
	.p2align	8
	.type	bluestein_single_back_len1620_dim1_dp_op_CI_CI,@function
bluestein_single_back_len1620_dim1_dp_op_CI_CI: ; @bluestein_single_back_len1620_dim1_dp_op_CI_CI
; %bb.0:
	s_load_dwordx4 s[12:15], s[4:5], 0x28
	v_mul_u32_u24_e32 v1, 0x195, v0
	s_mov_b64 s[26:27], s[2:3]
	s_mov_b64 s[24:25], s[0:1]
	v_mov_b32_e32 v11, 0
	s_add_u32 s24, s24, s7
	v_lshrrev_b32_e32 v1, 16, v1
	s_addc_u32 s25, s25, 0
	s_mov_b32 s0, exec_lo
	v_add_nc_u32_e32 v10, s6, v1
	s_waitcnt lgkmcnt(0)
	v_cmpx_gt_u64_e64 s[12:13], v[10:11]
	s_cbranch_execz .LBB0_34
; %bb.1:
	s_clause 0x1
	s_load_dwordx4 s[8:11], s[4:5], 0x18
	s_load_dwordx4 s[0:3], s[4:5], 0x0
	v_mul_lo_u16 v1, 0xa2, v1
	v_mov_b32_e32 v11, v10
	s_mov_b32 s7, 0xbfee6f0e
	s_mov_b32 s13, 0xbfe2cf23
	s_load_dwordx2 s[4:5], s[4:5], 0x38
	v_sub_nc_u16 v40, v0, v1
	v_and_b32_e32 v225, 0xffff, v40
	v_lshlrev_b32_e32 v226, 4, v225
	s_waitcnt lgkmcnt(0)
	s_load_dwordx4 s[16:19], s[8:9], 0x0
	v_add_co_u32 v212, s6, s0, v226
	v_add_co_ci_u32_e64 v213, null, s1, 0, s6
	global_load_dwordx4 v[117:120], v226, s[0:1]
	v_add_co_u32 v0, vcc_lo, 0x800, v212
	v_add_co_ci_u32_e32 v1, vcc_lo, 0, v213, vcc_lo
	v_add_co_u32 v2, vcc_lo, 0x1000, v212
	v_add_co_ci_u32_e32 v3, vcc_lo, 0, v213, vcc_lo
	;; [unrolled: 2-line block ×4, first 2 shown]
	v_add_co_u32 v12, vcc_lo, 0x3000, v212
	buffer_store_dword v11, off, s[24:27], 0 ; 4-byte Folded Spill
	buffer_store_dword v12, off, s[24:27], 0 offset:4 ; 4-byte Folded Spill
	s_waitcnt lgkmcnt(0)
	v_mad_u64_u32 v[14:15], null, s18, v10, 0
	v_mad_u64_u32 v[24:25], null, s16, v225, 0
	v_add_co_ci_u32_e32 v13, vcc_lo, 0, v213, vcc_lo
	v_add_co_u32 v26, vcc_lo, 0x3800, v212
	v_mov_b32_e32 v8, v15
	v_add_co_ci_u32_e32 v27, vcc_lo, 0, v213, vcc_lo
	v_mov_b32_e32 v9, v25
	v_add_co_u32 v28, vcc_lo, 0x4000, v212
	v_add_co_ci_u32_e32 v29, vcc_lo, 0, v213, vcc_lo
	v_mad_u64_u32 v[10:11], null, s19, v10, v[8:9]
	v_add_co_u32 v30, vcc_lo, 0x5000, v212
	global_load_dwordx4 v[36:39], v[0:1], off offset:544
	v_add_co_ci_u32_e32 v31, vcc_lo, 0, v213, vcc_lo
	s_mul_i32 s0, s17, 0xa20
	v_mad_u64_u32 v[32:33], null, s17, v225, v[9:10]
	v_mov_b32_e32 v15, v10
	v_add_co_u32 v33, vcc_lo, 0x5800, v212
	v_add_co_ci_u32_e32 v34, vcc_lo, 0, v213, vcc_lo
	v_lshlrev_b64 v[0:1], 4, v[14:15]
	v_mov_b32_e32 v25, v32
	s_clause 0x2
	global_load_dwordx4 v[20:23], v[2:3], off offset:1088
	global_load_dwordx4 v[16:19], v[4:5], off offset:1632
	;; [unrolled: 1-line block ×3, first 2 shown]
	s_mul_hi_u32 s1, s16, 0xa20
	s_mul_i32 s6, s16, 0xa20
	s_add_i32 s1, s1, s0
	v_lshlrev_b64 v[2:3], 4, v[24:25]
	v_add_co_u32 v0, vcc_lo, s14, v0
	v_add_co_ci_u32_e32 v1, vcc_lo, s15, v1, vcc_lo
	s_mov_b32 s14, 0x4755a5e
	v_add_co_u32 v0, vcc_lo, v0, v2
	v_add_co_ci_u32_e32 v1, vcc_lo, v1, v3, vcc_lo
	s_mov_b32 s15, 0x3fe2cf23
	;; [unrolled: 3-line block ×4, first 2 shown]
	s_mov_b32 s17, 0x3fd3c6ef
	s_mov_b32 s18, 0x9b97f4a8
	s_mov_b32 s19, 0x3fe9e377
	s_clause 0x1
	global_load_dwordx4 v[4:7], v[12:13], off offset:672
	global_load_dwordx4 v[12:15], v[26:27], off offset:1216
	s_clause 0x1
	global_load_dwordx4 v[41:44], v[0:1], off
	global_load_dwordx4 v[45:48], v[2:3], off
	v_add_co_u32 v0, vcc_lo, v24, s6
	v_add_co_ci_u32_e32 v1, vcc_lo, s1, v25, vcc_lo
	global_load_dwordx4 v[49:52], v[24:25], off
	v_add_co_u32 v2, vcc_lo, v0, s6
	v_add_co_ci_u32_e32 v3, vcc_lo, s1, v1, vcc_lo
	s_clause 0x1
	global_load_dwordx4 v[53:56], v[0:1], off
	global_load_dwordx4 v[57:60], v[2:3], off
	v_add_co_u32 v0, vcc_lo, v2, s6
	v_add_co_ci_u32_e32 v1, vcc_lo, s1, v3, vcc_lo
	v_add_co_u32 v2, vcc_lo, v0, s6
	global_load_dwordx4 v[61:64], v[0:1], off
	v_add_co_ci_u32_e32 v3, vcc_lo, s1, v1, vcc_lo
	v_add_co_u32 v0, vcc_lo, v2, s6
	v_add_co_ci_u32_e32 v1, vcc_lo, s1, v3, vcc_lo
	global_load_dwordx4 v[65:68], v[2:3], off
	v_add_co_u32 v2, vcc_lo, v0, s6
	v_add_co_ci_u32_e32 v3, vcc_lo, s1, v1, vcc_lo
	global_load_dwordx4 v[69:72], v[0:1], off
	v_add_co_u32 v0, vcc_lo, v2, s6
	v_add_co_ci_u32_e32 v1, vcc_lo, s1, v3, vcc_lo
	global_load_dwordx4 v[24:27], v[28:29], off offset:1760
	global_load_dwordx4 v[73:76], v[2:3], off
	s_clause 0x1
	global_load_dwordx4 v[28:31], v[30:31], off offset:256
	global_load_dwordx4 v[32:35], v[33:34], off offset:800
	global_load_dwordx4 v[77:80], v[0:1], off
	s_mov_b32 s0, 0x134454ff
	s_mov_b32 s1, 0x3fee6f0e
	s_mov_b32 s6, s0
	v_cmp_gt_u16_e32 vcc_lo, 54, v40
	s_waitcnt vmcnt(12)
	v_mul_f64 v[0:1], v[43:44], v[119:120]
	v_mul_f64 v[2:3], v[41:42], v[119:120]
	s_waitcnt vmcnt(11)
	v_mul_f64 v[81:82], v[47:48], v[38:39]
	v_mul_f64 v[83:84], v[45:46], v[38:39]
	;; [unrolled: 3-line block ×5, first 2 shown]
	s_waitcnt vmcnt(7)
	v_mul_f64 v[97:98], v[63:64], v[6:7]
	v_fma_f64 v[41:42], v[41:42], v[117:118], v[0:1]
	buffer_store_dword v117, off, s[24:27], 0 offset:8 ; 4-byte Folded Spill
	buffer_store_dword v118, off, s[24:27], 0 offset:12 ; 4-byte Folded Spill
	;; [unrolled: 1-line block ×4, first 2 shown]
	v_mul_f64 v[99:100], v[61:62], v[6:7]
	v_fma_f64 v[45:46], v[45:46], v[36:37], v[81:82]
	v_fma_f64 v[47:48], v[47:48], v[36:37], -v[83:84]
	v_fma_f64 v[49:50], v[49:50], v[20:21], v[85:86]
	v_fma_f64 v[51:52], v[51:52], v[20:21], -v[87:88]
	s_waitcnt vmcnt(6)
	v_mul_f64 v[101:102], v[67:68], v[14:15]
	v_mul_f64 v[103:104], v[65:66], v[14:15]
	v_fma_f64 v[53:54], v[53:54], v[16:17], v[89:90]
	v_fma_f64 v[55:56], v[55:56], v[16:17], -v[91:92]
	v_fma_f64 v[57:58], v[57:58], v[8:9], v[93:94]
	buffer_store_dword v8, off, s[24:27], 0 offset:40 ; 4-byte Folded Spill
	buffer_store_dword v9, off, s[24:27], 0 offset:44 ; 4-byte Folded Spill
	;; [unrolled: 1-line block ×4, first 2 shown]
	s_waitcnt vmcnt(4)
	v_mul_f64 v[105:106], v[71:72], v[26:27]
	v_mul_f64 v[107:108], v[69:70], v[26:27]
	s_waitcnt vmcnt(2)
	v_mul_f64 v[109:110], v[75:76], v[30:31]
	v_mul_f64 v[111:112], v[73:74], v[30:31]
	;; [unrolled: 3-line block ×3, first 2 shown]
	v_fma_f64 v[61:62], v[61:62], v[4:5], v[97:98]
	buffer_store_dword v4, off, s[24:27], 0 offset:24 ; 4-byte Folded Spill
	buffer_store_dword v5, off, s[24:27], 0 offset:28 ; 4-byte Folded Spill
	;; [unrolled: 1-line block ×4, first 2 shown]
	s_load_dwordx4 s[8:11], s[10:11], 0x0
	v_fma_f64 v[65:66], v[65:66], v[12:13], v[101:102]
	v_fma_f64 v[67:68], v[67:68], v[12:13], -v[103:104]
	v_fma_f64 v[69:70], v[69:70], v[24:25], v[105:106]
	v_fma_f64 v[71:72], v[71:72], v[24:25], -v[107:108]
	;; [unrolled: 2-line block ×4, first 2 shown]
	v_fma_f64 v[43:44], v[43:44], v[117:118], -v[2:3]
	v_fma_f64 v[59:60], v[59:60], v[8:9], -v[95:96]
	;; [unrolled: 1-line block ×3, first 2 shown]
	ds_write_b128 v226, v[41:44]
	ds_write_b128 v226, v[45:48] offset:2592
	ds_write_b128 v226, v[49:52] offset:5184
	;; [unrolled: 1-line block ×9, first 2 shown]
	s_waitcnt lgkmcnt(0)
	s_waitcnt_vscnt null, 0x0
	s_barrier
	buffer_gl0_inv
	ds_read_b128 v[41:44], v226 offset:7776
	ds_read_b128 v[45:48], v226 offset:12960
	;; [unrolled: 1-line block ×6, first 2 shown]
	ds_read_b128 v[65:68], v226
	ds_read_b128 v[69:72], v226 offset:15552
	ds_read_b128 v[73:76], v226 offset:20736
	ds_read_b128 v[77:80], v226 offset:2592
	s_waitcnt lgkmcnt(0)
	s_barrier
	buffer_gl0_inv
	v_add_f64 v[115:116], v[41:42], -v[45:46]
	v_add_f64 v[0:1], v[45:46], v[49:50]
	v_add_f64 v[2:3], v[43:44], v[55:56]
	;; [unrolled: 1-line block ×4, first 2 shown]
	v_add_f64 v[95:96], v[43:44], -v[55:56]
	v_add_f64 v[99:100], v[45:46], -v[49:50]
	;; [unrolled: 1-line block ×4, first 2 shown]
	v_add_f64 v[85:86], v[65:66], v[57:58]
	v_add_f64 v[89:90], v[61:62], v[69:70]
	;; [unrolled: 1-line block ×5, first 2 shown]
	v_add_f64 v[117:118], v[47:48], -v[43:44]
	v_add_f64 v[119:120], v[53:54], -v[49:50]
	;; [unrolled: 1-line block ×5, first 2 shown]
	v_add_f64 v[87:88], v[67:68], v[59:60]
	v_add_f64 v[103:104], v[59:60], -v[75:76]
	v_add_f64 v[105:106], v[63:64], -v[71:72]
	;; [unrolled: 1-line block ×3, first 2 shown]
	v_fma_f64 v[0:1], v[0:1], -0.5, v[77:78]
	v_fma_f64 v[2:3], v[2:3], -0.5, v[79:80]
	;; [unrolled: 1-line block ×4, first 2 shown]
	v_add_f64 v[77:78], v[77:78], v[41:42]
	v_add_f64 v[41:42], v[45:46], -v[41:42]
	v_add_f64 v[79:80], v[79:80], v[43:44]
	v_add_f64 v[43:44], v[43:44], -v[47:48]
	v_add_f64 v[111:112], v[61:62], -v[57:58]
	;; [unrolled: 1-line block ×5, first 2 shown]
	v_fma_f64 v[89:90], v[89:90], -0.5, v[65:66]
	v_add_f64 v[61:62], v[85:86], v[61:62]
	v_fma_f64 v[65:66], v[91:92], -0.5, v[65:66]
	v_fma_f64 v[85:86], v[93:94], -0.5, v[67:68]
	;; [unrolled: 1-line block ×3, first 2 shown]
	v_add_f64 v[91:92], v[115:116], v[119:120]
	v_add_f64 v[93:94], v[117:118], v[123:124]
	v_add_f64 v[139:140], v[69:70], -v[73:74]
	v_add_f64 v[113:114], v[59:60], -v[63:64]
	v_add_f64 v[59:60], v[63:64], -v[59:60]
	v_fma_f64 v[125:126], v[95:96], s[0:1], v[0:1]
	v_fma_f64 v[127:128], v[99:100], s[0:1], v[2:3]
	;; [unrolled: 1-line block ×8, first 2 shown]
	v_add_f64 v[41:42], v[41:42], v[121:122]
	v_add_f64 v[43:44], v[43:44], v[131:132]
	v_add_f64 v[63:64], v[87:88], v[63:64]
	v_add_f64 v[45:46], v[77:78], v[45:46]
	v_add_f64 v[47:48], v[79:80], v[47:48]
	v_add_f64 v[141:142], v[75:76], -v[71:72]
	v_add_f64 v[77:78], v[109:110], v[135:136]
	v_fma_f64 v[87:88], v[103:104], s[0:1], v[89:90]
	v_fma_f64 v[89:90], v[103:104], s[6:7], v[89:90]
	;; [unrolled: 1-line block ×4, first 2 shown]
	v_add_f64 v[143:144], v[71:72], -v[75:76]
	v_add_f64 v[79:80], v[111:112], v[139:140]
	v_add_f64 v[61:62], v[61:62], v[69:70]
	v_fma_f64 v[101:102], v[97:98], s[14:15], v[125:126]
	v_fma_f64 v[115:116], v[107:108], s[12:13], v[127:128]
	;; [unrolled: 1-line block ×12, first 2 shown]
	v_add_f64 v[63:64], v[63:64], v[71:72]
	v_add_f64 v[45:46], v[45:46], v[49:50]
	;; [unrolled: 1-line block ×3, first 2 shown]
	v_fma_f64 v[49:50], v[105:106], s[14:15], v[87:88]
	v_fma_f64 v[51:52], v[105:106], s[12:13], v[89:90]
	;; [unrolled: 1-line block ×4, first 2 shown]
	v_add_f64 v[59:60], v[59:60], v[143:144]
	v_mov_b32_e32 v128, 4
	v_add_f64 v[61:62], v[61:62], v[73:74]
	v_fma_f64 v[99:100], v[91:92], s[16:17], v[101:102]
	v_fma_f64 v[101:102], v[93:94], s[16:17], v[115:116]
	;; [unrolled: 1-line block ×7, first 2 shown]
	v_add_f64 v[91:92], v[113:114], v[141:142]
	v_fma_f64 v[69:70], v[103:104], s[14:15], v[97:98]
	v_fma_f64 v[65:66], v[103:104], s[12:13], v[65:66]
	;; [unrolled: 1-line block ×5, first 2 shown]
	v_add_f64 v[63:64], v[63:64], v[75:76]
	v_add_f64 v[45:46], v[45:46], v[53:54]
	;; [unrolled: 1-line block ×3, first 2 shown]
	v_fma_f64 v[73:74], v[77:78], s[16:17], v[49:50]
	v_fma_f64 v[105:106], v[77:78], s[16:17], v[51:52]
                                        ; implicit-def: $vgpr116_vgpr117
	v_fma_f64 v[87:88], v[59:60], s[16:17], v[87:88]
	v_mul_f64 v[67:68], v[99:100], s[18:19]
	v_mul_f64 v[83:84], v[101:102], s[0:1]
	;; [unrolled: 1-line block ×8, first 2 shown]
	v_fma_f64 v[69:70], v[79:80], s[16:17], v[69:70]
	v_fma_f64 v[78:79], v[79:80], s[16:17], v[65:66]
	;; [unrolled: 1-line block ×7, first 2 shown]
	v_fma_f64 v[71:72], v[81:82], s[14:15], -v[93:94]
	v_fma_f64 v[82:83], v[43:44], s[18:19], v[95:96]
	v_fma_f64 v[2:3], v[2:3], s[0:1], -v[89:90]
	v_fma_f64 v[89:90], v[101:102], s[16:17], v[97:98]
	v_fma_f64 v[93:94], v[111:112], s[6:7], -v[99:100]
	v_fma_f64 v[0:1], v[0:1], s[12:13], -v[103:104]
	v_add_f64 v[41:42], v[61:62], v[45:46]
	v_add_f64 v[43:44], v[63:64], v[47:48]
	v_add_f64 v[45:46], v[61:62], -v[45:46]
	v_add_f64 v[47:48], v[63:64], -v[47:48]
                                        ; implicit-def: $vgpr112_vgpr113
	v_add_f64 v[49:50], v[73:74], v[65:66]
	v_add_f64 v[53:54], v[69:70], v[67:68]
	;; [unrolled: 1-line block ×8, first 2 shown]
	v_add_f64 v[65:66], v[73:74], -v[65:66]
	v_add_f64 v[76:77], v[69:70], -v[67:68]
	v_add_f64 v[67:68], v[107:108], -v[82:83]
	v_add_f64 v[80:81], v[78:79], -v[2:3]
	v_add_f64 v[78:79], v[87:88], -v[89:90]
	v_add_f64 v[82:83], v[91:92], -v[93:94]
	v_add_f64 v[72:73], v[105:106], -v[71:72]
	v_add_f64 v[74:75], v[85:86], -v[0:1]
	v_mul_lo_u16 v0, v40, 10
	v_lshlrev_b32_sdwa v214, v128, v0 dst_sel:DWORD dst_unused:UNUSED_PAD src0_sel:DWORD src1_sel:WORD_0
	ds_write_b128 v214, v[41:44]
	ds_write_b128 v214, v[45:48] offset:80
	ds_write_b128 v214, v[49:52] offset:16
	ds_write_b128 v214, v[53:56] offset:32
	ds_write_b128 v214, v[57:60] offset:48
	ds_write_b128 v214, v[61:64] offset:64
	ds_write_b128 v214, v[65:68] offset:96
	ds_write_b128 v214, v[76:79] offset:112
	ds_write_b128 v214, v[80:83] offset:128
	ds_write_b128 v214, v[72:75] offset:144
	s_waitcnt lgkmcnt(0)
	s_barrier
	buffer_gl0_inv
	ds_read_b128 v[80:83], v226
	ds_read_b128 v[76:79], v226 offset:2592
	ds_read_b128 v[100:103], v226 offset:17280
	;; [unrolled: 1-line block ×8, first 2 shown]
	s_and_saveexec_b32 s0, vcc_lo
	s_cbranch_execz .LBB0_3
; %bb.2:
	ds_read_b128 v[72:75], v226 offset:7776
	ds_read_b128 v[112:115], v226 offset:16416
	;; [unrolled: 1-line block ×3, first 2 shown]
.LBB0_3:
	s_or_b32 exec_lo, exec_lo, s0
	v_and_b32_e32 v0, 0xff, v225
	v_mov_b32_e32 v1, 0xcccd
	v_add_co_u32 v210, s0, 0xa2, v225
	v_add_co_ci_u32_e64 v211, null, 0, 0, s0
	v_mul_lo_u16 v0, 0xcd, v0
	v_add_co_u32 v208, s0, 0x144, v225
	v_add_co_ci_u32_e64 v209, null, 0, 0, s0
	v_lshrrev_b16 v4, 11, v0
	v_mul_u32_u24_sdwa v0, v210, v1 dst_sel:DWORD dst_unused:UNUSED_PAD src0_sel:WORD_0 src1_sel:DWORD
	v_add_co_u32 v215, s0, 0x1e6, v225
	v_mul_u32_u24_sdwa v3, v208, v1 dst_sel:DWORD dst_unused:UNUSED_PAD src0_sel:WORD_0 src1_sel:DWORD
	v_mul_lo_u16 v2, v4, 10
	v_lshrrev_b32_e32 v5, 19, v0
	v_mul_u32_u24_sdwa v0, v215, v1 dst_sel:DWORD dst_unused:UNUSED_PAD src0_sel:WORD_0 src1_sel:DWORD
	v_add_co_ci_u32_e64 v216, null, 0, 0, s0
	v_lshrrev_b32_e32 v6, 19, v3
	v_mul_lo_u16 v1, v5, 10
	v_sub_nc_u16 v2, v225, v2
	v_lshrrev_b32_e32 v3, 19, v0
	s_mov_b32 s0, 0xe8584caa
	v_mul_lo_u16 v0, v6, 10
	v_sub_nc_u16 v7, v210, v1
	v_and_b32_e32 v8, 0xff, v2
	v_mul_lo_u16 v1, v3, 10
	buffer_store_dword v3, off, s[24:27], 0 offset:56 ; 4-byte Folded Spill
	v_sub_nc_u16 v9, v208, v0
	v_lshlrev_b16 v0, 1, v7
	v_lshlrev_b32_e32 v2, 5, v8
	v_sub_nc_u16 v3, v215, v1
	s_clause 0x1
	global_load_dwordx4 v[44:47], v2, s[2:3]
	global_load_dwordx4 v[40:43], v2, s[2:3] offset:16
	v_lshlrev_b16 v1, 1, v9
	v_lshlrev_b32_sdwa v0, v128, v0 dst_sel:DWORD dst_unused:UNUSED_PAD src0_sel:DWORD src1_sel:WORD_0
	v_lshlrev_b16 v2, 1, v3
	buffer_store_dword v3, off, s[24:27], 0 offset:60 ; 4-byte Folded Spill
	s_clause 0x1
	global_load_dwordx4 v[60:63], v0, s[2:3]
	global_load_dwordx4 v[56:59], v0, s[2:3] offset:16
	v_lshlrev_b32_sdwa v1, v128, v1 dst_sel:DWORD dst_unused:UNUSED_PAD src0_sel:DWORD src1_sel:WORD_0
	v_lshlrev_b32_sdwa v0, v128, v2 dst_sel:DWORD dst_unused:UNUSED_PAD src0_sel:DWORD src1_sel:WORD_0
	s_clause 0x3
	global_load_dwordx4 v[52:55], v1, s[2:3]
	global_load_dwordx4 v[48:51], v1, s[2:3] offset:16
	global_load_dwordx4 v[68:71], v0, s[2:3]
	global_load_dwordx4 v[64:67], v0, s[2:3] offset:16
	s_mov_b32 s1, 0x3febb67a
	s_mov_b32 s7, 0xbfebb67a
	;; [unrolled: 1-line block ×3, first 2 shown]
	v_mov_b32_e32 v10, 30
	s_waitcnt vmcnt(0) lgkmcnt(0)
	s_waitcnt_vscnt null, 0x0
	s_barrier
	buffer_gl0_inv
	v_mul_f64 v[0:1], v[110:111], v[46:47]
	v_mul_f64 v[2:3], v[102:103], v[42:43]
	;; [unrolled: 1-line block ×16, first 2 shown]
	v_fma_f64 v[0:1], v[108:109], v[44:45], -v[0:1]
	v_fma_f64 v[2:3], v[100:101], v[40:41], -v[2:3]
	v_fma_f64 v[100:101], v[110:111], v[44:45], v[120:121]
	v_fma_f64 v[102:103], v[102:103], v[40:41], v[122:123]
	v_fma_f64 v[104:105], v[104:105], v[60:61], -v[124:125]
	v_fma_f64 v[88:89], v[88:89], v[56:57], -v[126:127]
	v_fma_f64 v[106:107], v[106:107], v[60:61], v[129:130]
	v_fma_f64 v[90:91], v[90:91], v[56:57], v[131:132]
	;; [unrolled: 4-line block ×4, first 2 shown]
	v_add_f64 v[126:127], v[80:81], v[0:1]
	v_add_f64 v[116:117], v[0:1], v[2:3]
	v_add_f64 v[0:1], v[0:1], -v[2:3]
	v_add_f64 v[118:119], v[100:101], v[102:103]
	v_add_f64 v[131:132], v[100:101], -v[102:103]
	v_add_f64 v[100:101], v[82:83], v[100:101]
	v_add_f64 v[137:138], v[76:77], v[104:105]
	;; [unrolled: 1-line block ×13, first 2 shown]
	v_add_f64 v[149:150], v[106:107], -v[90:91]
	v_add_f64 v[151:152], v[104:105], -v[88:89]
	;; [unrolled: 1-line block ×4, first 2 shown]
	v_fma_f64 v[116:117], v[116:117], -0.5, v[80:81]
	v_add_f64 v[112:113], v[112:113], -v[114:115]
	v_fma_f64 v[118:119], v[118:119], -0.5, v[82:83]
	v_add_f64 v[157:158], v[108:109], -v[110:111]
	v_fma_f64 v[120:121], v[120:121], -0.5, v[76:77]
	v_add_f64 v[76:77], v[137:138], v[88:89]
	v_fma_f64 v[122:123], v[122:123], -0.5, v[78:79]
	v_add_f64 v[78:79], v[139:140], v[90:91]
	;; [unrolled: 2-line block ×6, first 2 shown]
	v_add_f64 v[104:105], v[145:146], v[110:111]
	v_add_f64 v[106:107], v[147:148], v[114:115]
	v_fma_f64 v[88:89], v[131:132], s[6:7], v[116:117]
	v_fma_f64 v[84:85], v[131:132], s[0:1], v[116:117]
	;; [unrolled: 1-line block ×4, first 2 shown]
	v_mul_u32_u24_sdwa v0, v4, v10 dst_sel:DWORD dst_unused:UNUSED_PAD src0_sel:WORD_0 src1_sel:DWORD
	v_mad_u16 v1, v5, 30, v7
	v_fma_f64 v[92:93], v[149:150], s[0:1], v[120:121]
	v_fma_f64 v[96:97], v[149:150], s[6:7], v[120:121]
	;; [unrolled: 1-line block ×12, first 2 shown]
	v_mad_u16 v2, v6, 30, v9
	v_add_lshl_u32 v3, v0, v8, 4
	v_lshlrev_b32_sdwa v1, v128, v1 dst_sel:DWORD dst_unused:UNUSED_PAD src0_sel:DWORD src1_sel:WORD_0
	ds_write_b128 v3, v[72:75]
	ds_write_b128 v3, v[84:87] offset:160
	v_lshlrev_b32_sdwa v0, v128, v2 dst_sel:DWORD dst_unused:UNUSED_PAD src0_sel:DWORD src1_sel:WORD_0
	buffer_store_dword v3, off, s[24:27], 0 offset:72 ; 4-byte Folded Spill
	ds_write_b128 v3, v[88:91] offset:320
	ds_write_b128 v1, v[76:79]
	ds_write_b128 v1, v[92:95] offset:160
	buffer_store_dword v1, off, s[24:27], 0 offset:68 ; 4-byte Folded Spill
	ds_write_b128 v1, v[96:99] offset:320
	ds_write_b128 v0, v[80:83]
	ds_write_b128 v0, v[100:103] offset:160
	buffer_store_dword v0, off, s[24:27], 0 offset:64 ; 4-byte Folded Spill
	ds_write_b128 v0, v[108:111] offset:320
	s_and_saveexec_b32 s0, vcc_lo
	s_cbranch_execz .LBB0_5
; %bb.4:
	s_clause 0x1
	buffer_load_dword v0, off, s[24:27], 0 offset:56
	buffer_load_dword v1, off, s[24:27], 0 offset:60
	s_waitcnt vmcnt(0)
	v_mad_u16 v0, v0, 30, v1
	v_mov_b32_e32 v1, 4
	v_lshlrev_b32_sdwa v0, v1, v0 dst_sel:DWORD dst_unused:UNUSED_PAD src0_sel:DWORD src1_sel:WORD_0
	ds_write_b128 v0, v[104:107]
	ds_write_b128 v0, v[120:123] offset:160
	ds_write_b128 v0, v[124:127] offset:320
.LBB0_5:
	s_or_b32 exec_lo, exec_lo, s0
	s_waitcnt lgkmcnt(0)
	s_waitcnt_vscnt null, 0x0
	s_barrier
	buffer_gl0_inv
	ds_read_b128 v[112:115], v226
	ds_read_b128 v[108:111], v226 offset:2592
	ds_read_b128 v[140:143], v226 offset:17280
	;; [unrolled: 1-line block ×8, first 2 shown]
	s_and_saveexec_b32 s0, vcc_lo
	s_cbranch_execz .LBB0_7
; %bb.6:
	ds_read_b128 v[104:107], v226 offset:7776
	ds_read_b128 v[120:123], v226 offset:16416
	;; [unrolled: 1-line block ×3, first 2 shown]
.LBB0_7:
	s_or_b32 exec_lo, exec_lo, s0
	v_and_b32_e32 v0, 0xff, v225
	v_mov_b32_e32 v1, 0x8889
	v_mov_b32_e32 v190, 0x5a
	v_mul_lo_u16 v0, 0x89, v0
	v_mul_u32_u24_sdwa v2, v210, v1 dst_sel:DWORD dst_unused:UNUSED_PAD src0_sel:WORD_0 src1_sel:DWORD
	v_mul_u32_u24_sdwa v3, v208, v1 dst_sel:DWORD dst_unused:UNUSED_PAD src0_sel:WORD_0 src1_sel:DWORD
	;; [unrolled: 1-line block ×3, first 2 shown]
	v_lshrrev_b16 v4, 12, v0
	v_lshrrev_b32_e32 v5, 20, v2
	v_lshrrev_b32_e32 v6, 20, v3
	;; [unrolled: 1-line block ×3, first 2 shown]
	v_mul_lo_u16 v0, v4, 30
	v_mul_lo_u16 v1, v5, 30
	;; [unrolled: 1-line block ×4, first 2 shown]
	v_sub_nc_u16 v0, v225, v0
	v_sub_nc_u16 v8, v210, v1
	;; [unrolled: 1-line block ×4, first 2 shown]
	v_and_b32_e32 v11, 0xff, v0
	v_lshlrev_b16 v0, 5, v8
	v_lshlrev_b16 v1, 5, v9
	;; [unrolled: 1-line block ×3, first 2 shown]
	v_lshlrev_b32_e32 v3, 5, v11
	v_and_b32_e32 v0, 0xffff, v0
	v_and_b32_e32 v76, 0xffff, v1
	;; [unrolled: 1-line block ×3, first 2 shown]
	s_clause 0x1
	global_load_dwordx4 v[72:75], v3, s[2:3] offset:336
	global_load_dwordx4 v[80:83], v3, s[2:3] offset:320
	v_add_co_u32 v0, s0, s2, v0
	v_add_co_ci_u32_e64 v1, null, s3, 0, s0
	v_add_co_u32 v2, s0, s2, v76
	v_add_co_ci_u32_e64 v3, null, s3, 0, s0
	s_clause 0x1
	global_load_dwordx4 v[76:79], v[0:1], off offset:336
	global_load_dwordx4 v[92:95], v[0:1], off offset:320
	v_add_co_u32 v0, s0, s2, v84
	v_add_co_ci_u32_e64 v1, null, s3, 0, s0
	s_clause 0x3
	global_load_dwordx4 v[88:91], v[2:3], off offset:320
	global_load_dwordx4 v[84:87], v[2:3], off offset:336
	global_load_dwordx4 v[100:103], v[0:1], off offset:320
	global_load_dwordx4 v[96:99], v[0:1], off offset:336
	s_mov_b32 s0, 0xe8584caa
	s_mov_b32 s1, 0x3febb67a
	;; [unrolled: 1-line block ×3, first 2 shown]
	s_waitcnt vmcnt(7) lgkmcnt(6)
	v_mul_f64 v[2:3], v[142:143], v[74:75]
	s_waitcnt vmcnt(6) lgkmcnt(4)
	v_mul_f64 v[0:1], v[150:151], v[82:83]
	v_mul_f64 v[152:153], v[148:149], v[82:83]
	;; [unrolled: 1-line block ×3, first 2 shown]
	s_waitcnt vmcnt(5)
	v_mul_f64 v[158:159], v[130:131], v[78:79]
	s_waitcnt vmcnt(4) lgkmcnt(2)
	v_mul_f64 v[156:157], v[146:147], v[94:95]
	v_mul_f64 v[160:161], v[144:145], v[94:95]
	;; [unrolled: 1-line block ×3, first 2 shown]
	s_waitcnt vmcnt(3) lgkmcnt(1)
	v_mul_f64 v[164:165], v[134:135], v[90:91]
	s_waitcnt vmcnt(2) lgkmcnt(0)
	v_mul_f64 v[166:167], v[138:139], v[86:87]
	v_mul_f64 v[168:169], v[132:133], v[90:91]
	;; [unrolled: 1-line block ×3, first 2 shown]
	s_waitcnt vmcnt(1)
	v_mul_f64 v[172:173], v[122:123], v[102:103]
	s_waitcnt vmcnt(0)
	v_mul_f64 v[174:175], v[126:127], v[98:99]
	v_mul_f64 v[176:177], v[120:121], v[102:103]
	;; [unrolled: 1-line block ×3, first 2 shown]
	v_fma_f64 v[2:3], v[140:141], v[72:73], -v[2:3]
	v_fma_f64 v[0:1], v[148:149], v[80:81], -v[0:1]
	v_fma_f64 v[140:141], v[150:151], v[80:81], v[152:153]
	v_fma_f64 v[142:143], v[142:143], v[72:73], v[154:155]
	v_fma_f64 v[128:129], v[128:129], v[76:77], -v[158:159]
	v_fma_f64 v[144:145], v[144:145], v[92:93], -v[156:157]
	v_fma_f64 v[146:147], v[146:147], v[92:93], v[160:161]
	v_fma_f64 v[130:131], v[130:131], v[76:77], v[162:163]
	;; [unrolled: 4-line block ×4, first 2 shown]
	v_add_f64 v[148:149], v[0:1], v[2:3]
	v_add_f64 v[158:159], v[112:113], v[0:1]
	;; [unrolled: 1-line block ×3, first 2 shown]
	v_add_f64 v[162:163], v[140:141], -v[142:143]
	v_add_f64 v[140:141], v[114:115], v[140:141]
	v_add_f64 v[0:1], v[0:1], -v[2:3]
	v_add_f64 v[152:153], v[144:145], v[128:129]
	v_add_f64 v[168:169], v[108:109], v[144:145]
	;; [unrolled: 1-line block ×12, first 2 shown]
	v_add_f64 v[180:181], v[146:147], -v[130:131]
	v_fma_f64 v[148:149], v[148:149], -0.5, v[112:113]
	v_add_f64 v[182:183], v[144:145], -v[128:129]
	v_fma_f64 v[150:151], v[150:151], -0.5, v[114:115]
	v_add_f64 v[134:135], v[134:135], -v[138:139]
	v_add_f64 v[132:133], v[132:133], -v[136:137]
	;; [unrolled: 1-line block ×4, first 2 shown]
	v_fma_f64 v[152:153], v[152:153], -0.5, v[108:109]
	v_add_f64 v[108:109], v[158:159], v[2:3]
	v_fma_f64 v[154:155], v[154:155], -0.5, v[110:111]
	v_add_f64 v[110:111], v[140:141], v[142:143]
	;; [unrolled: 2-line block ×6, first 2 shown]
	v_add_f64 v[172:173], v[176:177], v[124:125]
	v_add_f64 v[174:175], v[178:179], v[126:127]
	v_fma_f64 v[116:117], v[162:163], s[0:1], v[148:149]
	v_fma_f64 v[120:121], v[162:163], s[6:7], v[148:149]
	;; [unrolled: 1-line block ×4, first 2 shown]
	v_mul_u32_u24_sdwa v0, v4, v190 dst_sel:DWORD dst_unused:UNUSED_PAD src0_sel:WORD_0 src1_sel:DWORD
	v_mad_u16 v1, 0x5a, v5, v8
	v_fma_f64 v[124:125], v[180:181], s[0:1], v[152:153]
	v_fma_f64 v[128:129], v[180:181], s[6:7], v[152:153]
	;; [unrolled: 1-line block ×12, first 2 shown]
	v_mov_b32_e32 v104, 4
	v_mad_u16 v2, 0x5a, v6, v9
	v_mad_u16 v3, 0x5a, v7, v10
	v_add_lshl_u32 v235, v0, v11, 4
	v_lshlrev_b32_sdwa v237, v104, v1 dst_sel:DWORD dst_unused:UNUSED_PAD src0_sel:DWORD src1_sel:WORD_0
	v_lshlrev_b32_sdwa v0, v104, v2 dst_sel:DWORD dst_unused:UNUSED_PAD src0_sel:DWORD src1_sel:WORD_0
	buffer_store_dword v3, off, s[24:27], 0 offset:76 ; 4-byte Folded Spill
	s_waitcnt_vscnt null, 0x0
	s_barrier
	buffer_gl0_inv
	ds_write_b128 v235, v[108:111]
	ds_write_b128 v235, v[116:119] offset:480
	ds_write_b128 v235, v[120:123] offset:960
	ds_write_b128 v237, v[112:115]
	ds_write_b128 v237, v[124:127] offset:480
	ds_write_b128 v237, v[128:131] offset:960
	ds_write_b128 v0, v[144:147]
	ds_write_b128 v0, v[160:163] offset:480
	buffer_store_dword v0, off, s[24:27], 0 offset:80 ; 4-byte Folded Spill
	ds_write_b128 v0, v[148:151] offset:960
	s_and_saveexec_b32 s0, vcc_lo
	s_cbranch_execz .LBB0_9
; %bb.8:
	buffer_load_dword v0, off, s[24:27], 0 offset:76 ; 4-byte Folded Reload
	s_waitcnt vmcnt(0)
	v_lshlrev_b32_sdwa v0, v104, v0 dst_sel:DWORD dst_unused:UNUSED_PAD src0_sel:DWORD src1_sel:WORD_0
	ds_write_b128 v0, v[172:175]
	ds_write_b128 v0, v[152:155] offset:480
	ds_write_b128 v0, v[176:179] offset:960
.LBB0_9:
	s_or_b32 exec_lo, exec_lo, s0
	s_waitcnt lgkmcnt(0)
	s_waitcnt_vscnt null, 0x0
	s_barrier
	buffer_gl0_inv
	ds_read_b128 v[156:159], v226
	ds_read_b128 v[180:183], v226 offset:4320
	ds_read_b128 v[164:167], v226 offset:8640
	ds_read_b128 v[184:187], v226 offset:12960
	ds_read_b128 v[168:171], v226 offset:17280
	ds_read_b128 v[188:191], v226 offset:21600
	v_cmp_gt_u16_e64 s0, 0x6c, v225
	s_and_saveexec_b32 s1, s0
	s_cbranch_execz .LBB0_11
; %bb.10:
	ds_read_b128 v[144:147], v226 offset:2592
	ds_read_b128 v[160:163], v226 offset:6912
	;; [unrolled: 1-line block ×6, first 2 shown]
.LBB0_11:
	s_or_b32 exec_lo, exec_lo, s1
	v_mov_b32_e32 v0, 0x2d83
	v_cmp_gt_u16_e64 s1, 0x5a, v225
	s_mov_b32 s6, 0xe8584caa
	s_mov_b32 s7, 0x3febb67a
	;; [unrolled: 1-line block ×3, first 2 shown]
	v_mul_u32_u24_sdwa v0, v210, v0 dst_sel:DWORD dst_unused:UNUSED_PAD src0_sel:WORD_0 src1_sel:DWORD
	s_mov_b32 s12, s6
	v_lshrrev_b32_e32 v4, 20, v0
	v_add_nc_u32_e32 v0, 0xffffffa6, v225
	v_mul_lo_u16 v1, 0x5a, v4
	v_cndmask_b32_e64 v5, v0, v225, s1
	v_sub_nc_u16 v6, v210, v1
	v_mul_i32_i24_e32 v0, 0x50, v5
	v_mul_hi_i32_i24_e32 v1, 0x50, v5
	v_mul_lo_u16 v2, 0x50, v6
	v_add_co_u32 v0, s1, s2, v0
	v_add_co_ci_u32_e64 v1, s1, s3, v1, s1
	v_and_b32_e32 v2, 0xffff, v2
	s_clause 0x1
	global_load_dwordx4 v[132:135], v[0:1], off offset:1312
	global_load_dwordx4 v[136:139], v[0:1], off offset:1344
	v_add_co_u32 v2, s1, s2, v2
	v_add_co_ci_u32_e64 v3, null, s3, 0, s1
	v_cmp_lt_u16_e64 s1, 0x59, v225
	s_clause 0x7
	global_load_dwordx4 v[128:131], v[2:3], off offset:1312
	global_load_dwordx4 v[140:143], v[2:3], off offset:1344
	global_load_dwordx4 v[116:119], v[0:1], off offset:1280
	global_load_dwordx4 v[104:107], v[2:3], off offset:1280
	global_load_dwordx4 v[124:127], v[0:1], off offset:1296
	global_load_dwordx4 v[120:123], v[0:1], off offset:1328
	global_load_dwordx4 v[112:115], v[2:3], off offset:1296
	global_load_dwordx4 v[108:111], v[2:3], off offset:1328
	s_waitcnt vmcnt(0) lgkmcnt(0)
	s_barrier
	buffer_gl0_inv
	v_mul_f64 v[0:1], v[186:187], v[134:135]
	v_mul_f64 v[2:3], v[184:185], v[134:135]
	;; [unrolled: 1-line block ×12, first 2 shown]
	v_fma_f64 v[0:1], v[184:185], v[132:133], -v[0:1]
	v_fma_f64 v[2:3], v[186:187], v[132:133], v[2:3]
	v_fma_f64 v[184:185], v[190:191], v[136:137], v[192:193]
	v_fma_f64 v[186:187], v[188:189], v[136:137], -v[194:195]
	v_mul_f64 v[188:189], v[162:163], v[106:107]
	v_mul_f64 v[190:191], v[160:161], v[106:107]
	v_fma_f64 v[172:173], v[172:173], v[128:129], -v[196:197]
	v_fma_f64 v[174:175], v[174:175], v[128:129], v[198:199]
	v_fma_f64 v[178:179], v[178:179], v[140:141], v[200:201]
	v_fma_f64 v[176:177], v[176:177], v[140:141], -v[202:203]
	v_mul_f64 v[192:193], v[166:167], v[126:127]
	v_mul_f64 v[194:195], v[164:165], v[126:127]
	;; [unrolled: 1-line block ×4, first 2 shown]
	v_fma_f64 v[180:181], v[180:181], v[116:117], -v[204:205]
	v_fma_f64 v[182:183], v[182:183], v[116:117], v[206:207]
	v_mul_f64 v[204:205], v[150:151], v[114:115]
	v_mul_f64 v[206:207], v[148:149], v[114:115]
	v_fma_f64 v[152:153], v[152:153], v[108:109], -v[217:218]
	v_fma_f64 v[154:155], v[154:155], v[108:109], v[219:220]
	v_add_f64 v[200:201], v[2:3], v[184:185]
	v_add_f64 v[202:203], v[0:1], v[186:187]
	v_fma_f64 v[160:161], v[160:161], v[104:105], -v[188:189]
	v_fma_f64 v[162:163], v[162:163], v[104:105], v[190:191]
	v_add_f64 v[188:189], v[174:175], v[178:179]
	v_add_f64 v[190:191], v[172:173], v[176:177]
	v_fma_f64 v[164:165], v[164:165], v[124:125], -v[192:193]
	v_fma_f64 v[166:167], v[166:167], v[124:125], v[194:195]
	v_fma_f64 v[168:169], v[168:169], v[120:121], -v[196:197]
	v_fma_f64 v[170:171], v[170:171], v[120:121], v[198:199]
	v_add_f64 v[192:193], v[2:3], -v[184:185]
	v_add_f64 v[194:195], v[0:1], -v[186:187]
	v_fma_f64 v[148:149], v[148:149], v[112:113], -v[204:205]
	v_fma_f64 v[150:151], v[150:151], v[112:113], v[206:207]
	v_add_f64 v[0:1], v[180:181], v[0:1]
	v_add_f64 v[2:3], v[182:183], v[2:3]
	v_fma_f64 v[196:197], v[200:201], -0.5, v[182:183]
	v_fma_f64 v[198:199], v[202:203], -0.5, v[180:181]
	v_add_f64 v[200:201], v[174:175], -v[178:179]
	v_add_f64 v[202:203], v[172:173], -v[176:177]
	v_fma_f64 v[188:189], v[188:189], -0.5, v[162:163]
	v_fma_f64 v[190:191], v[190:191], -0.5, v[160:161]
	v_add_f64 v[206:207], v[156:157], v[164:165]
	v_add_f64 v[160:161], v[160:161], v[172:173]
	;; [unrolled: 1-line block ×4, first 2 shown]
	v_add_f64 v[219:220], v[166:167], -v[170:171]
	v_add_f64 v[166:167], v[158:159], v[166:167]
	v_add_f64 v[164:165], v[164:165], -v[168:169]
	v_add_f64 v[180:181], v[144:145], v[148:149]
	v_add_f64 v[182:183], v[146:147], v[150:151]
	;; [unrolled: 1-line block ×3, first 2 shown]
	v_add_f64 v[172:173], v[150:151], -v[154:155]
	v_add_f64 v[0:1], v[0:1], v[186:187]
	v_add_f64 v[2:3], v[2:3], v[184:185]
	v_fma_f64 v[221:222], v[194:195], s[12:13], v[196:197]
	v_fma_f64 v[227:228], v[192:193], s[12:13], v[198:199]
	v_fma_f64 v[192:193], v[192:193], s[6:7], v[198:199]
	v_fma_f64 v[194:195], v[194:195], s[6:7], v[196:197]
	v_add_f64 v[196:197], v[148:149], v[152:153]
	v_add_f64 v[198:199], v[150:151], v[154:155]
	v_fma_f64 v[229:230], v[202:203], s[12:13], v[188:189]
	v_fma_f64 v[231:232], v[200:201], s[12:13], v[190:191]
	v_fma_f64 v[190:191], v[200:201], s[6:7], v[190:191]
	v_fma_f64 v[188:189], v[202:203], s[6:7], v[188:189]
	v_fma_f64 v[156:157], v[204:205], -0.5, v[156:157]
	v_fma_f64 v[150:151], v[217:218], -0.5, v[158:159]
	v_add_f64 v[158:159], v[148:149], -v[152:153]
	v_add_f64 v[206:207], v[206:207], v[168:169]
	v_add_f64 v[148:149], v[182:183], v[154:155]
	;; [unrolled: 1-line block ×3, first 2 shown]
	v_mul_f64 v[174:175], v[221:222], s[6:7]
	v_mul_f64 v[200:201], v[227:228], -0.5
	v_mul_f64 v[202:203], v[192:193], s[12:13]
	v_mul_f64 v[204:205], v[194:195], -0.5
	v_fma_f64 v[196:197], v[196:197], -0.5, v[144:145]
	v_fma_f64 v[168:169], v[198:199], -0.5, v[146:147]
	v_add_f64 v[198:199], v[166:167], v[170:171]
	v_mul_f64 v[166:167], v[229:230], s[6:7]
	v_mul_f64 v[170:171], v[231:232], -0.5
	v_mul_f64 v[217:218], v[190:191], s[12:13]
	v_mul_f64 v[233:234], v[188:189], -0.5
	v_add_f64 v[144:145], v[180:181], v[152:153]
	v_add_f64 v[146:147], v[160:161], v[176:177]
	v_fma_f64 v[180:181], v[219:220], s[6:7], v[156:157]
	v_fma_f64 v[182:183], v[219:220], s[12:13], v[156:157]
	v_fma_f64 v[219:220], v[164:165], s[12:13], v[150:151]
	v_fma_f64 v[238:239], v[164:165], s[6:7], v[150:151]
	v_add_f64 v[186:187], v[148:149], -v[154:155]
	v_fma_f64 v[240:241], v[192:193], 0.5, v[174:175]
	v_fma_f64 v[200:201], v[194:195], s[6:7], v[200:201]
	v_fma_f64 v[202:203], v[221:222], 0.5, v[202:203]
	v_fma_f64 v[204:205], v[227:228], s[12:13], v[204:205]
	v_fma_f64 v[150:151], v[172:173], s[6:7], v[196:197]
	;; [unrolled: 1-line block ×5, first 2 shown]
	v_fma_f64 v[156:157], v[190:191], 0.5, v[166:167]
	v_fma_f64 v[158:159], v[188:189], s[6:7], v[170:171]
	v_fma_f64 v[164:165], v[229:230], 0.5, v[217:218]
	v_fma_f64 v[166:167], v[231:232], s[12:13], v[233:234]
	v_add_f64 v[168:169], v[206:207], v[0:1]
	v_add_f64 v[170:171], v[198:199], v[2:3]
	v_add_f64 v[184:185], v[144:145], -v[146:147]
	v_add_f64 v[172:173], v[206:207], -v[0:1]
	;; [unrolled: 1-line block ×3, first 2 shown]
	v_cndmask_b32_e64 v0, 0, 0x21c, s1
	v_add_lshl_u32 v236, v5, v0, 4
	v_add_f64 v[176:177], v[180:181], v[240:241]
	v_add_f64 v[192:193], v[182:183], v[200:201]
	;; [unrolled: 1-line block ×3, first 2 shown]
	v_add_f64 v[196:197], v[180:181], -v[240:241]
	v_add_f64 v[200:201], v[182:183], -v[200:201]
	v_add_f64 v[178:179], v[219:220], v[202:203]
	v_add_f64 v[198:199], v[219:220], -v[202:203]
	v_add_f64 v[188:189], v[150:151], -v[156:157]
	;; [unrolled: 1-line block ×6, first 2 shown]
	v_mad_u16 v0, 0x21c, v4, v6
	ds_write_b128 v236, v[168:171]
	ds_write_b128 v236, v[176:179] offset:1440
	buffer_store_dword v0, off, s[24:27], 0 offset:84 ; 4-byte Folded Spill
	ds_write_b128 v236, v[192:195] offset:2880
	ds_write_b128 v236, v[172:175] offset:4320
	ds_write_b128 v236, v[196:199] offset:5760
	ds_write_b128 v236, v[200:203] offset:7200
	s_and_saveexec_b32 s1, s0
	s_cbranch_execz .LBB0_13
; %bb.12:
	buffer_load_dword v1, off, s[24:27], 0 offset:84 ; 4-byte Folded Reload
	v_add_f64 v[148:149], v[148:149], v[154:155]
	v_add_f64 v[146:147], v[144:145], v[146:147]
	;; [unrolled: 1-line block ×6, first 2 shown]
	v_mov_b32_e32 v0, 4
	s_waitcnt vmcnt(0)
	v_lshlrev_b32_sdwa v0, v0, v1 dst_sel:DWORD dst_unused:UNUSED_PAD src0_sel:DWORD src1_sel:WORD_0
	ds_write_b128 v0, v[184:187] offset:4320
	ds_write_b128 v0, v[188:191] offset:5760
	ds_write_b128 v0, v[146:149]
	ds_write_b128 v0, v[164:167] offset:1440
	ds_write_b128 v0, v[160:163] offset:2880
	;; [unrolled: 1-line block ×3, first 2 shown]
.LBB0_13:
	s_or_b32 exec_lo, exec_lo, s1
	s_waitcnt lgkmcnt(0)
	s_waitcnt_vscnt null, 0x0
	s_barrier
	buffer_gl0_inv
	ds_read_b128 v[196:199], v226
	ds_read_b128 v[192:195], v226 offset:2592
	ds_read_b128 v[172:175], v226 offset:17280
	;; [unrolled: 1-line block ×8, first 2 shown]
	s_and_saveexec_b32 s1, vcc_lo
	s_cbranch_execz .LBB0_15
; %bb.14:
	ds_read_b128 v[184:187], v226 offset:7776
	ds_read_b128 v[188:191], v226 offset:16416
	;; [unrolled: 1-line block ×3, first 2 shown]
.LBB0_15:
	s_or_b32 exec_lo, exec_lo, s1
	v_lshlrev_b32_e32 v0, 5, v225
	s_mov_b32 s7, 0xbfebb67a
	v_add_co_u32 v2, s1, s2, v0
	v_add_co_ci_u32_e64 v3, null, s3, 0, s1
	v_add_co_u32 v0, s1, 0x2000, v2
	v_add_co_ci_u32_e64 v1, s1, 0, v3, s1
	global_load_dwordx4 v[144:147], v[0:1], off offset:288
	v_add_co_u32 v0, s1, 0x2120, v2
	v_add_co_ci_u32_e64 v1, s1, 0, v3, s1
	global_load_dwordx4 v[148:151], v[0:1], off offset:16
	v_lshlrev_b64 v[0:1], 5, v[210:211]
	v_add_co_u32 v2, s1, s2, v0
	v_add_co_ci_u32_e64 v3, s1, s3, v1, s1
	v_add_co_u32 v0, s1, 0x2000, v2
	v_add_co_ci_u32_e64 v1, s1, 0, v3, s1
	global_load_dwordx4 v[160:163], v[0:1], off offset:288
	v_add_co_u32 v0, s1, 0x2120, v2
	v_add_co_ci_u32_e64 v1, s1, 0, v3, s1
	global_load_dwordx4 v[164:167], v[0:1], off offset:16
	s_waitcnt vmcnt(3) lgkmcnt(4)
	v_mul_f64 v[0:1], v[206:207], v[146:147]
	v_mul_f64 v[2:3], v[204:205], v[146:147]
	s_waitcnt vmcnt(2)
	v_mul_f64 v[210:211], v[174:175], v[150:151]
	v_fma_f64 v[0:1], v[204:205], v[144:145], -v[0:1]
	v_mul_f64 v[204:205], v[172:173], v[150:151]
	v_fma_f64 v[2:3], v[206:207], v[144:145], v[2:3]
	s_waitcnt vmcnt(1) lgkmcnt(2)
	v_mul_f64 v[206:207], v[202:203], v[162:163]
	v_fma_f64 v[210:211], v[172:173], v[148:149], -v[210:211]
	v_mul_f64 v[172:173], v[200:201], v[162:163]
	v_fma_f64 v[204:205], v[174:175], v[148:149], v[204:205]
	s_waitcnt vmcnt(0)
	v_mul_f64 v[174:175], v[170:171], v[166:167]
	v_fma_f64 v[217:218], v[200:201], v[160:161], -v[206:207]
	v_lshlrev_b64 v[200:201], 5, v[208:209]
	v_fma_f64 v[219:220], v[202:203], v[160:161], v[172:173]
	v_mul_f64 v[172:173], v[168:169], v[166:167]
	v_add_co_u32 v4, s1, s2, v200
	v_add_co_ci_u32_e64 v5, s1, s3, v201, s1
	v_add_co_u32 v200, s1, 0x2000, v4
	v_add_co_ci_u32_e64 v201, s1, 0, v5, s1
	v_fma_f64 v[221:222], v[168:169], v[164:165], -v[174:175]
	v_fma_f64 v[227:228], v[170:171], v[164:165], v[172:173]
	global_load_dwordx4 v[168:171], v[200:201], off offset:288
	v_add_co_u32 v172, s1, 0x2120, v4
	v_add_co_ci_u32_e64 v173, s1, 0, v5, s1
	v_add_co_u32 v4, s1, 0xffffffca, v225
	v_add_co_ci_u32_e64 v5, null, 0, -1, s1
	global_load_dwordx4 v[172:175], v[172:173], off offset:16
	s_waitcnt vmcnt(1) lgkmcnt(1)
	v_mul_f64 v[200:201], v[158:159], v[170:171]
	v_fma_f64 v[229:230], v[156:157], v[168:169], -v[200:201]
	v_mul_f64 v[156:157], v[156:157], v[170:171]
	v_fma_f64 v[231:232], v[158:159], v[168:169], v[156:157]
	s_waitcnt vmcnt(0) lgkmcnt(0)
	v_mul_f64 v[156:157], v[154:155], v[174:175]
	v_fma_f64 v[233:234], v[152:153], v[172:173], -v[156:157]
	v_mul_f64 v[152:153], v[152:153], v[174:175]
	v_fma_f64 v[238:239], v[154:155], v[172:173], v[152:153]
	v_cndmask_b32_e32 v152, v4, v215, vcc_lo
	v_cndmask_b32_e32 v153, v5, v216, vcc_lo
	v_lshlrev_b64 v[152:153], 5, v[152:153]
	v_add_co_u32 v4, s1, s2, v152
	v_add_co_ci_u32_e64 v5, s1, s3, v153, s1
	s_mov_b32 s2, 0xe8584caa
	v_add_co_u32 v152, s1, 0x2000, v4
	v_add_co_ci_u32_e64 v153, s1, 0, v5, s1
	v_add_co_u32 v156, s1, 0x2120, v4
	v_add_co_ci_u32_e64 v157, s1, 0, v5, s1
	s_clause 0x1
	global_load_dwordx4 v[152:155], v[152:153], off offset:288
	global_load_dwordx4 v[156:159], v[156:157], off offset:16
	s_mov_b32 s3, 0x3febb67a
	s_mov_b32 s6, s2
	s_waitcnt vmcnt(1)
	v_mul_f64 v[200:201], v[190:191], v[154:155]
	v_fma_f64 v[200:201], v[188:189], v[152:153], -v[200:201]
	v_mul_f64 v[188:189], v[188:189], v[154:155]
	v_fma_f64 v[190:191], v[190:191], v[152:153], v[188:189]
	s_waitcnt vmcnt(0)
	v_mul_f64 v[188:189], v[182:183], v[158:159]
	v_fma_f64 v[188:189], v[180:181], v[156:157], -v[188:189]
	v_mul_f64 v[180:181], v[180:181], v[158:159]
	v_fma_f64 v[202:203], v[182:183], v[156:157], v[180:181]
	v_add_f64 v[180:181], v[0:1], v[210:211]
	v_add_f64 v[182:183], v[2:3], v[204:205]
	v_fma_f64 v[180:181], v[180:181], -0.5, v[196:197]
	v_fma_f64 v[182:183], v[182:183], -0.5, v[198:199]
	v_add_f64 v[198:199], v[198:199], v[2:3]
	v_add_f64 v[196:197], v[196:197], v[0:1]
	v_add_f64 v[2:3], v[2:3], -v[204:205]
	v_add_f64 v[0:1], v[0:1], -v[210:211]
	v_add_f64 v[198:199], v[198:199], v[204:205]
	v_add_f64 v[196:197], v[196:197], v[210:211]
	v_fma_f64 v[204:205], v[2:3], s[2:3], v[180:181]
	v_fma_f64 v[208:209], v[2:3], s[6:7], v[180:181]
	;; [unrolled: 1-line block ×4, first 2 shown]
	v_add_f64 v[0:1], v[217:218], v[221:222]
	v_add_f64 v[2:3], v[219:220], v[227:228]
	;; [unrolled: 1-line block ×4, first 2 shown]
	v_add_f64 v[219:220], v[219:220], -v[227:228]
	v_fma_f64 v[0:1], v[0:1], -0.5, v[192:193]
	v_fma_f64 v[2:3], v[2:3], -0.5, v[194:195]
	v_add_f64 v[194:195], v[180:181], v[227:228]
	v_add_f64 v[180:181], v[217:218], -v[221:222]
	v_add_f64 v[192:193], v[182:183], v[221:222]
	v_fma_f64 v[215:216], v[219:220], s[2:3], v[0:1]
	v_fma_f64 v[219:220], v[219:220], s[6:7], v[0:1]
	v_add_f64 v[0:1], v[229:230], v[233:234]
	v_fma_f64 v[217:218], v[180:181], s[6:7], v[2:3]
	v_fma_f64 v[221:222], v[180:181], s[2:3], v[2:3]
	v_add_f64 v[2:3], v[231:232], v[238:239]
	v_add_f64 v[180:181], v[231:232], -v[238:239]
	v_fma_f64 v[0:1], v[0:1], -0.5, v[176:177]
	v_add_f64 v[176:177], v[176:177], v[229:230]
	v_fma_f64 v[2:3], v[2:3], -0.5, v[178:179]
	v_add_f64 v[178:179], v[178:179], v[231:232]
	v_fma_f64 v[242:243], v[180:181], s[2:3], v[0:1]
	v_fma_f64 v[246:247], v[180:181], s[6:7], v[0:1]
	v_add_f64 v[0:1], v[200:201], v[188:189]
	v_add_f64 v[240:241], v[178:179], v[238:239]
	;; [unrolled: 1-line block ×3, first 2 shown]
	v_add_f64 v[176:177], v[229:230], -v[233:234]
	v_add_f64 v[178:179], v[190:191], -v[202:203]
	v_fma_f64 v[0:1], v[0:1], -0.5, v[184:185]
	v_fma_f64 v[244:245], v[176:177], s[6:7], v[2:3]
	v_fma_f64 v[248:249], v[176:177], s[2:3], v[2:3]
	v_add_f64 v[2:3], v[190:191], v[202:203]
	ds_write_b128 v226, v[196:199]
	ds_write_b128 v226, v[204:207] offset:8640
	ds_write_b128 v226, v[208:211] offset:17280
	;; [unrolled: 1-line block ×8, first 2 shown]
	v_fma_f64 v[176:177], v[178:179], s[2:3], v[0:1]
	v_fma_f64 v[180:181], v[178:179], s[6:7], v[0:1]
	v_add_f64 v[0:1], v[200:201], -v[188:189]
	v_fma_f64 v[2:3], v[2:3], -0.5, v[186:187]
	v_fma_f64 v[178:179], v[0:1], s[6:7], v[2:3]
	v_fma_f64 v[182:183], v[0:1], s[2:3], v[2:3]
	s_and_saveexec_b32 s1, vcc_lo
	s_cbranch_execz .LBB0_17
; %bb.16:
	v_add_f64 v[0:1], v[186:187], v[190:191]
	v_add_f64 v[2:3], v[184:185], v[200:201]
	;; [unrolled: 1-line block ×4, first 2 shown]
	ds_write_b128 v226, v[176:179] offset:16416
	ds_write_b128 v226, v[184:187] offset:7776
	;; [unrolled: 1-line block ×3, first 2 shown]
.LBB0_17:
	s_or_b32 exec_lo, exec_lo, s1
	v_add_co_u32 v0, s1, 0x6000, v212
	v_add_co_ci_u32_e64 v1, s1, 0, v213, s1
	s_waitcnt lgkmcnt(0)
	s_barrier
	buffer_gl0_inv
	global_load_dwordx4 v[184:187], v[0:1], off offset:1344
	v_add_co_u32 v0, s1, 0x6800, v212
	v_add_co_ci_u32_e64 v1, s1, 0, v213, s1
	v_add_co_u32 v2, s1, 0x7800, v212
	v_add_co_ci_u32_e64 v3, s1, 0, v213, s1
	s_clause 0x1
	global_load_dwordx4 v[188:191], v[0:1], off offset:1888
	global_load_dwordx4 v[192:195], v[2:3], off offset:384
	v_add_co_u32 v0, s1, 0x8000, v212
	v_add_co_ci_u32_e64 v1, s1, 0, v213, s1
	s_mov_b32 s12, 0x134454ff
	s_mov_b32 s13, 0xbfee6f0e
	s_mov_b32 s3, 0x3fee6f0e
	global_load_dwordx4 v[196:199], v[0:1], off offset:928
	v_add_co_u32 v0, s1, 0x8800, v212
	v_add_co_ci_u32_e64 v1, s1, 0, v213, s1
	s_mov_b32 s2, s12
	s_mov_b32 s14, 0x4755a5e
	s_mov_b32 s15, 0xbfe2cf23
	;; [unrolled: 6-line block ×3, first 2 shown]
	global_load_dwordx4 v[204:207], v[0:1], off offset:2016
	v_add_co_u32 v0, s1, 0xa000, v212
	v_add_co_ci_u32_e64 v1, s1, 0, v213, s1
	v_add_co_u32 v2, s1, 0xa800, v212
	v_add_co_ci_u32_e64 v3, s1, 0, v213, s1
	;; [unrolled: 2-line block ×3, first 2 shown]
	s_clause 0x1
	global_load_dwordx4 v[208:211], v[0:1], off offset:512
	global_load_dwordx4 v[215:218], v[2:3], off offset:1056
	v_add_co_u32 v0, s1, 0xc000, v212
	v_add_co_ci_u32_e64 v1, s1, 0, v213, s1
	s_clause 0x1
	global_load_dwordx4 v[219:222], v[219:220], off offset:1600
	global_load_dwordx4 v[238:241], v[0:1], off offset:96
	ds_read_b128 v[242:245], v226
	ds_read_b128 v[246:249], v226 offset:2592
	ds_read_b128 v[250:253], v226 offset:5184
	;; [unrolled: 1-line block ×4, first 2 shown]
	s_mov_b32 s20, s16
	s_mov_b32 s23, 0xbfe9e377
	;; [unrolled: 1-line block ×3, first 2 shown]
	s_waitcnt vmcnt(9) lgkmcnt(4)
	v_mul_f64 v[0:1], v[244:245], v[186:187]
	v_mul_f64 v[2:3], v[242:243], v[186:187]
	s_waitcnt vmcnt(8) lgkmcnt(3)
	v_mul_f64 v[212:213], v[248:249], v[190:191]
	v_mul_f64 v[190:191], v[246:247], v[190:191]
	;; [unrolled: 3-line block ×3, first 2 shown]
	v_fma_f64 v[242:243], v[242:243], v[184:185], -v[0:1]
	v_fma_f64 v[244:245], v[244:245], v[184:185], v[2:3]
	ds_read_b128 v[184:187], v226 offset:12960
	s_waitcnt vmcnt(6) lgkmcnt(2)
	v_mul_f64 v[0:1], v[229:230], v[198:199]
	v_mul_f64 v[2:3], v[227:228], v[198:199]
	v_fma_f64 v[246:247], v[246:247], v[188:189], -v[212:213]
	s_waitcnt vmcnt(5) lgkmcnt(1)
	v_mul_f64 v[212:213], v[233:234], v[202:203]
	v_mul_f64 v[202:203], v[231:232], v[202:203]
	v_fma_f64 v[248:249], v[248:249], v[188:189], v[190:191]
	v_fma_f64 v[188:189], v[250:251], v[192:193], -v[254:255]
	v_fma_f64 v[190:191], v[252:253], v[192:193], v[194:195]
	ds_read_b128 v[192:195], v226 offset:15552
	ds_read_b128 v[250:253], v226 offset:18144
	s_waitcnt vmcnt(4) lgkmcnt(2)
	v_mul_f64 v[254:255], v[186:187], v[206:207]
	v_mul_f64 v[206:207], v[184:185], v[206:207]
	v_fma_f64 v[227:228], v[227:228], v[196:197], -v[0:1]
	v_fma_f64 v[229:230], v[229:230], v[196:197], v[2:3]
	ds_read_b128 v[196:199], v226 offset:20736
	ds_read_b128 v[0:3], v226 offset:23328
	v_fma_f64 v[231:232], v[231:232], v[200:201], -v[212:213]
	v_fma_f64 v[233:234], v[233:234], v[200:201], v[202:203]
	s_waitcnt vmcnt(3) lgkmcnt(3)
	v_mul_f64 v[200:201], v[194:195], v[210:211]
	v_mul_f64 v[202:203], v[192:193], v[210:211]
	s_waitcnt vmcnt(2) lgkmcnt(2)
	v_mul_f64 v[210:211], v[252:253], v[217:218]
	v_mul_f64 v[212:213], v[250:251], v[217:218]
	v_fma_f64 v[184:185], v[184:185], v[204:205], -v[254:255]
	v_fma_f64 v[186:187], v[186:187], v[204:205], v[206:207]
	s_waitcnt vmcnt(1) lgkmcnt(1)
	v_mul_f64 v[204:205], v[198:199], v[221:222]
	v_mul_f64 v[206:207], v[196:197], v[221:222]
	s_waitcnt vmcnt(0) lgkmcnt(0)
	v_mul_f64 v[217:218], v[2:3], v[240:241]
	v_mul_f64 v[221:222], v[0:1], v[240:241]
	v_fma_f64 v[192:193], v[192:193], v[208:209], -v[200:201]
	v_fma_f64 v[194:195], v[194:195], v[208:209], v[202:203]
	v_fma_f64 v[200:201], v[250:251], v[215:216], -v[210:211]
	v_fma_f64 v[202:203], v[252:253], v[215:216], v[212:213]
	;; [unrolled: 2-line block ×4, first 2 shown]
	ds_write_b128 v226, v[242:245]
	ds_write_b128 v226, v[246:249] offset:2592
	ds_write_b128 v226, v[188:191] offset:5184
	;; [unrolled: 1-line block ×9, first 2 shown]
	s_waitcnt lgkmcnt(0)
	s_barrier
	buffer_gl0_inv
	ds_read_b128 v[0:3], v226 offset:5184
	ds_read_b128 v[184:187], v226
	ds_read_b128 v[188:191], v226 offset:15552
	ds_read_b128 v[192:195], v226 offset:10368
	ds_read_b128 v[196:199], v226 offset:20736
	ds_read_b128 v[200:203], v226 offset:12960
	ds_read_b128 v[204:207], v226 offset:18144
	ds_read_b128 v[208:211], v226 offset:7776
	ds_read_b128 v[215:218], v226 offset:23328
	ds_read_b128 v[219:222], v226 offset:2592
	s_waitcnt lgkmcnt(0)
	s_barrier
	buffer_gl0_inv
	v_add_f64 v[212:213], v[184:185], v[0:1]
	v_add_f64 v[227:228], v[186:187], v[2:3]
	;; [unrolled: 1-line block ×6, first 2 shown]
	v_add_f64 v[240:241], v[2:3], -v[198:199]
	v_add_f64 v[242:243], v[202:203], v[206:207]
	v_add_f64 v[244:245], v[210:211], v[217:218]
	;; [unrolled: 1-line block ×4, first 2 shown]
	v_add_f64 v[250:251], v[194:195], -v[190:191]
	v_add_f64 v[223:224], v[192:193], -v[0:1]
	v_add_f64 v[4:5], v[219:220], v[208:209]
	v_add_f64 v[6:7], v[221:222], v[210:211]
	v_add_f64 v[252:253], v[0:1], -v[192:193]
	v_add_f64 v[254:255], v[196:197], -v[188:189]
	;; [unrolled: 1-line block ×5, first 2 shown]
	v_add_f64 v[212:213], v[212:213], v[192:193]
	v_add_f64 v[227:228], v[227:228], v[194:195]
	v_fma_f64 v[229:230], v[229:230], -0.5, v[184:185]
	v_fma_f64 v[184:185], v[231:232], -0.5, v[184:185]
	;; [unrolled: 1-line block ×3, first 2 shown]
	v_add_f64 v[233:234], v[2:3], -v[194:195]
	v_add_f64 v[2:3], v[194:195], -v[2:3]
	;; [unrolled: 1-line block ×3, first 2 shown]
	v_fma_f64 v[186:187], v[238:239], -0.5, v[186:187]
	v_add_f64 v[192:193], v[192:193], -v[188:189]
	v_add_f64 v[238:239], v[198:199], -v[190:191]
	v_fma_f64 v[242:243], v[242:243], -0.5, v[221:222]
	v_fma_f64 v[221:222], v[244:245], -0.5, v[221:222]
	;; [unrolled: 1-line block ×4, first 2 shown]
	v_add_f64 v[246:247], v[190:191], -v[198:199]
	v_add_f64 v[248:249], v[200:201], -v[204:205]
	v_add_f64 v[4:5], v[4:5], v[200:201]
	v_add_f64 v[6:7], v[6:7], v[202:203]
	;; [unrolled: 1-line block ×4, first 2 shown]
	v_add_f64 v[212:213], v[208:209], -v[200:201]
	v_add_f64 v[227:228], v[210:211], -v[202:203]
	;; [unrolled: 1-line block ×6, first 2 shown]
	v_add_f64 v[194:195], v[223:224], v[194:195]
	v_add_f64 v[223:224], v[204:205], -v[215:216]
	v_add_f64 v[233:234], v[233:234], v[238:239]
	v_add_f64 v[2:3], v[2:3], v[246:247]
	;; [unrolled: 1-line block ×6, first 2 shown]
	v_fma_f64 v[238:239], v[202:203], s[2:3], v[242:243]
	v_fma_f64 v[242:243], v[202:203], s[12:13], v[242:243]
	v_add_f64 v[210:211], v[212:213], v[210:211]
	v_add_f64 v[212:213], v[217:218], -v[206:207]
	v_add_f64 v[200:201], v[200:201], v[223:224]
	v_fma_f64 v[223:224], v[248:249], s[12:13], v[221:222]
	v_fma_f64 v[221:222], v[248:249], s[2:3], v[221:222]
	v_add_f64 v[4:5], v[4:5], v[215:216]
	v_add_f64 v[6:7], v[6:7], v[217:218]
	v_fma_f64 v[238:239], v[248:249], s[6:7], v[238:239]
	v_fma_f64 v[242:243], v[248:249], s[14:15], v[242:243]
	;; [unrolled: 1-line block ×3, first 2 shown]
	v_add_f64 v[212:213], v[227:228], v[212:213]
	v_add_f64 v[227:228], v[206:207], -v[217:218]
	v_fma_f64 v[223:224], v[202:203], s[6:7], v[223:224]
	v_fma_f64 v[202:203], v[202:203], s[14:15], v[221:222]
	;; [unrolled: 1-line block ×7, first 2 shown]
	v_add_f64 v[8:9], v[8:9], v[227:228]
	v_fma_f64 v[212:213], v[212:213], s[16:17], v[242:243]
	v_fma_f64 v[242:243], v[192:193], s[12:13], v[186:187]
	;; [unrolled: 1-line block ×10, first 2 shown]
	v_add_f64 v[227:228], v[252:253], v[254:255]
	v_fma_f64 v[223:224], v[8:9], s[16:17], v[223:224]
	v_fma_f64 v[8:9], v[8:9], s[16:17], v[202:203]
	;; [unrolled: 1-line block ×14, first 2 shown]
	v_mul_f64 v[186:187], v[212:213], s[14:15]
	v_mul_f64 v[210:211], v[212:213], s[22:23]
	;; [unrolled: 1-line block ×4, first 2 shown]
	v_fma_f64 v[202:203], v[192:193], s[6:7], v[202:203]
	v_fma_f64 v[192:193], v[192:193], s[14:15], v[231:232]
	v_mul_f64 v[231:232], v[238:239], s[14:15]
	v_mul_f64 v[244:245], v[221:222], s[6:7]
	v_mul_f64 v[208:209], v[8:9], s[12:13]
	v_mul_f64 v[8:9], v[8:9], s[20:21]
	v_fma_f64 v[198:199], v[227:228], s[16:17], v[204:205]
	v_fma_f64 v[212:213], v[227:228], s[16:17], v[206:207]
	;; [unrolled: 1-line block ×16, first 2 shown]
	v_add_f64 v[0:1], v[188:189], v[4:5]
	v_add_f64 v[2:3], v[190:191], v[6:7]
	v_add_f64 v[188:189], v[188:189], -v[4:5]
	v_add_f64 v[190:191], v[190:191], -v[6:7]
	v_add_f64 v[196:197], v[206:207], v[215:216]
	v_add_f64 v[208:209], v[206:207], -v[215:216]
	v_add_f64 v[215:216], v[212:213], v[186:187]
	;; [unrolled: 2-line block ×3, first 2 shown]
	v_add_f64 v[194:195], v[202:203], v[217:218]
	v_add_f64 v[200:201], v[198:199], -v[204:205]
	v_add_f64 v[198:199], v[219:220], v[223:224]
	v_add_f64 v[204:205], v[184:185], v[221:222]
	;; [unrolled: 1-line block ×3, first 2 shown]
	v_add_f64 v[202:203], v[202:203], -v[217:218]
	v_add_f64 v[217:218], v[227:228], v[10:11]
	v_add_f64 v[219:220], v[184:185], -v[221:222]
	v_add_f64 v[221:222], v[229:230], -v[8:9]
	;; [unrolled: 1-line block ×4, first 2 shown]
	ds_write_b128 v214, v[0:3]
	ds_write_b128 v214, v[188:191] offset:80
	ds_write_b128 v214, v[192:195] offset:16
	;; [unrolled: 1-line block ×9, first 2 shown]
	s_waitcnt lgkmcnt(0)
	s_barrier
	buffer_gl0_inv
	ds_read_b128 v[192:195], v226
	ds_read_b128 v[188:191], v226 offset:2592
	ds_read_b128 v[212:215], v226 offset:17280
	;; [unrolled: 1-line block ×8, first 2 shown]
	s_and_saveexec_b32 s1, vcc_lo
	s_cbranch_execz .LBB0_19
; %bb.18:
	ds_read_b128 v[184:187], v226 offset:7776
	ds_read_b128 v[176:179], v226 offset:16416
	;; [unrolled: 1-line block ×3, first 2 shown]
.LBB0_19:
	s_or_b32 exec_lo, exec_lo, s1
	s_waitcnt lgkmcnt(4)
	v_mul_f64 v[0:1], v[46:47], v[222:223]
	v_mul_f64 v[2:3], v[46:47], v[220:221]
	;; [unrolled: 1-line block ×5, first 2 shown]
	s_waitcnt lgkmcnt(2)
	v_mul_f64 v[42:43], v[62:63], v[216:217]
	v_mul_f64 v[46:47], v[58:59], v[200:201]
	s_waitcnt lgkmcnt(1)
	v_mul_f64 v[58:59], v[54:55], v[206:207]
	v_mul_f64 v[54:55], v[54:55], v[204:205]
	;; [unrolled: 1-line block ×3, first 2 shown]
	s_waitcnt lgkmcnt(0)
	v_mul_f64 v[229:230], v[66:67], v[182:183]
	v_mul_f64 v[70:71], v[70:71], v[176:177]
	;; [unrolled: 1-line block ×6, first 2 shown]
	s_mov_b32 s2, 0xe8584caa
	s_mov_b32 s3, 0xbfebb67a
	s_mov_b32 s7, 0x3febb67a
	s_mov_b32 s6, s2
	s_barrier
	v_fma_f64 v[0:1], v[44:45], v[220:221], v[0:1]
	v_fma_f64 v[2:3], v[44:45], v[222:223], -v[2:3]
	v_fma_f64 v[4:5], v[40:41], v[212:213], v[4:5]
	v_fma_f64 v[6:7], v[40:41], v[214:215], -v[6:7]
	;; [unrolled: 2-line block ×3, first 2 shown]
	v_fma_f64 v[42:43], v[56:57], v[202:203], -v[46:47]
	v_fma_f64 v[44:45], v[52:53], v[204:205], v[58:59]
	v_fma_f64 v[46:47], v[52:53], v[206:207], -v[54:55]
	buffer_gl0_inv
	v_fma_f64 v[52:53], v[64:65], v[180:181], v[229:230]
	v_fma_f64 v[54:55], v[68:69], v[178:179], -v[70:71]
	v_fma_f64 v[58:59], v[64:65], v[182:183], -v[66:67]
	v_fma_f64 v[8:9], v[60:61], v[216:217], v[8:9]
	v_fma_f64 v[56:57], v[48:49], v[208:209], v[62:63]
	v_fma_f64 v[50:51], v[48:49], v[210:211], -v[50:51]
	v_fma_f64 v[48:49], v[68:69], v[176:177], v[227:228]
	v_add_f64 v[70:71], v[192:193], v[0:1]
	v_add_f64 v[60:61], v[0:1], v[4:5]
	;; [unrolled: 1-line block ×3, first 2 shown]
	v_add_f64 v[200:201], v[0:1], -v[4:5]
	v_add_f64 v[204:205], v[190:191], v[40:41]
	v_add_f64 v[66:67], v[40:41], v[42:43]
	v_add_f64 v[178:179], v[2:3], -v[6:7]
	v_add_f64 v[2:3], v[194:195], v[2:3]
	v_add_f64 v[208:209], v[198:199], v[46:47]
	;; [unrolled: 1-line block ×5, first 2 shown]
	v_add_f64 v[216:217], v[54:55], -v[58:59]
	v_add_f64 v[64:65], v[8:9], v[10:11]
	v_add_f64 v[176:177], v[46:47], v[50:51]
	v_add_f64 v[218:219], v[48:49], -v[52:53]
	v_add_f64 v[210:211], v[184:185], v[48:49]
	v_add_f64 v[180:181], v[48:49], v[52:53]
	;; [unrolled: 1-line block ×4, first 2 shown]
	v_add_f64 v[8:9], v[8:9], -v[10:11]
	v_add_f64 v[0:1], v[70:71], v[4:5]
	v_add_f64 v[214:215], v[44:45], -v[56:57]
	v_fma_f64 v[60:61], v[60:61], -0.5, v[192:193]
	v_fma_f64 v[62:63], v[62:63], -0.5, v[194:195]
	v_add_f64 v[192:193], v[40:41], -v[42:43]
	v_add_f64 v[194:195], v[46:47], -v[50:51]
	v_fma_f64 v[190:191], v[66:67], -0.5, v[190:191]
	v_add_f64 v[46:47], v[204:205], v[42:43]
	v_add_f64 v[2:3], v[2:3], v[6:7]
	;; [unrolled: 1-line block ×5, first 2 shown]
	v_fma_f64 v[4:5], v[182:183], -0.5, v[186:187]
	v_fma_f64 v[188:189], v[64:65], -0.5, v[188:189]
	;; [unrolled: 1-line block ×3, first 2 shown]
	v_add_f64 v[40:41], v[210:211], v[52:53]
	v_fma_f64 v[220:221], v[180:181], -0.5, v[184:185]
	v_add_f64 v[44:45], v[202:203], v[10:11]
	v_fma_f64 v[196:197], v[68:69], -0.5, v[196:197]
	v_fma_f64 v[52:53], v[178:179], s[2:3], v[60:61]
	v_fma_f64 v[54:55], v[200:201], s[6:7], v[62:63]
	;; [unrolled: 1-line block ×8, first 2 shown]
	buffer_load_dword v4, off, s[24:27], 0 offset:72 ; 4-byte Folded Reload
	v_fma_f64 v[68:69], v[192:193], s[2:3], v[188:189]
	v_fma_f64 v[176:177], v[192:193], s[6:7], v[188:189]
	;; [unrolled: 1-line block ×8, first 2 shown]
	s_waitcnt vmcnt(0)
	ds_write_b128 v4, v[0:3]
	ds_write_b128 v4, v[52:55] offset:160
	ds_write_b128 v4, v[64:67] offset:320
	buffer_load_dword v0, off, s[24:27], 0 offset:68 ; 4-byte Folded Reload
	s_waitcnt vmcnt(0)
	ds_write_b128 v0, v[44:47]
	ds_write_b128 v0, v[68:71] offset:160
	ds_write_b128 v0, v[176:179] offset:320
	buffer_load_dword v0, off, s[24:27], 0 offset:64 ; 4-byte Folded Reload
	s_waitcnt vmcnt(0)
	ds_write_b128 v0, v[48:51]
	ds_write_b128 v0, v[180:183] offset:160
	ds_write_b128 v0, v[184:187] offset:320
	s_and_saveexec_b32 s1, vcc_lo
	s_cbranch_execz .LBB0_21
; %bb.20:
	s_clause 0x1
	buffer_load_dword v0, off, s[24:27], 0 offset:56
	buffer_load_dword v1, off, s[24:27], 0 offset:60
	s_waitcnt vmcnt(0)
	v_mad_u16 v0, v0, 30, v1
	v_mov_b32_e32 v1, 4
	v_lshlrev_b32_sdwa v0, v1, v0 dst_sel:DWORD dst_unused:UNUSED_PAD src0_sel:DWORD src1_sel:WORD_0
	ds_write_b128 v0, v[40:43]
	ds_write_b128 v0, v[56:59] offset:160
	ds_write_b128 v0, v[60:63] offset:320
.LBB0_21:
	s_or_b32 exec_lo, exec_lo, s1
	s_waitcnt lgkmcnt(0)
	s_barrier
	buffer_gl0_inv
	ds_read_b128 v[48:51], v226
	ds_read_b128 v[44:47], v226 offset:2592
	ds_read_b128 v[180:183], v226 offset:17280
	;; [unrolled: 1-line block ×8, first 2 shown]
	s_and_saveexec_b32 s1, vcc_lo
	s_cbranch_execz .LBB0_23
; %bb.22:
	ds_read_b128 v[40:43], v226 offset:7776
	ds_read_b128 v[56:59], v226 offset:16416
	;; [unrolled: 1-line block ×3, first 2 shown]
.LBB0_23:
	s_or_b32 exec_lo, exec_lo, s1
	s_waitcnt lgkmcnt(4)
	v_mul_f64 v[0:1], v[82:83], v[190:191]
	v_mul_f64 v[2:3], v[82:83], v[188:189]
	;; [unrolled: 1-line block ×4, first 2 shown]
	s_waitcnt lgkmcnt(2)
	v_mul_f64 v[8:9], v[94:95], v[186:187]
	v_mul_f64 v[10:11], v[78:79], v[66:67]
	;; [unrolled: 1-line block ×4, first 2 shown]
	s_waitcnt lgkmcnt(1)
	v_mul_f64 v[82:83], v[90:91], v[70:71]
	s_waitcnt lgkmcnt(0)
	v_mul_f64 v[94:95], v[86:87], v[178:179]
	v_mul_f64 v[90:91], v[90:91], v[68:69]
	v_mul_f64 v[86:87], v[86:87], v[176:177]
	v_mul_f64 v[192:193], v[102:103], v[58:59]
	v_mul_f64 v[194:195], v[98:99], v[62:63]
	v_mul_f64 v[102:103], v[102:103], v[56:57]
	v_mul_f64 v[98:99], v[98:99], v[60:61]
	s_mov_b32 s6, s2
	s_barrier
	buffer_gl0_inv
	v_fma_f64 v[0:1], v[80:81], v[188:189], v[0:1]
	v_fma_f64 v[2:3], v[80:81], v[190:191], -v[2:3]
	v_fma_f64 v[4:5], v[72:73], v[180:181], v[4:5]
	v_fma_f64 v[6:7], v[72:73], v[182:183], -v[6:7]
	v_fma_f64 v[8:9], v[92:93], v[184:185], v[8:9]
	v_fma_f64 v[10:11], v[76:77], v[64:65], v[10:11]
	v_fma_f64 v[64:65], v[92:93], v[186:187], -v[74:75]
	v_fma_f64 v[66:67], v[76:77], v[66:67], -v[78:79]
	v_fma_f64 v[68:69], v[88:89], v[68:69], v[82:83]
	v_fma_f64 v[72:73], v[84:85], v[176:177], v[94:95]
	v_fma_f64 v[70:71], v[88:89], v[70:71], -v[90:91]
	;; [unrolled: 4-line block ×3, first 2 shown]
	v_fma_f64 v[62:63], v[96:97], v[62:63], -v[98:99]
	v_add_f64 v[86:87], v[48:49], v[0:1]
	v_add_f64 v[76:77], v[0:1], v[4:5]
	;; [unrolled: 1-line block ×3, first 2 shown]
	v_add_f64 v[90:91], v[2:3], -v[6:7]
	v_add_f64 v[80:81], v[8:9], v[10:11]
	v_add_f64 v[2:3], v[50:51], v[2:3]
	;; [unrolled: 1-line block ×3, first 2 shown]
	v_add_f64 v[96:97], v[0:1], -v[4:5]
	v_add_f64 v[84:85], v[68:69], v[72:73]
	v_add_f64 v[102:103], v[52:53], v[68:69]
	;; [unrolled: 1-line block ×10, first 2 shown]
	v_add_f64 v[8:9], v[8:9], -v[10:11]
	v_add_f64 v[182:183], v[68:69], -v[72:73]
	v_add_f64 v[0:1], v[86:87], v[4:5]
	v_fma_f64 v[48:49], v[76:77], -0.5, v[48:49]
	v_fma_f64 v[50:51], v[78:79], -0.5, v[50:51]
	v_add_f64 v[76:77], v[64:65], -v[66:67]
	v_fma_f64 v[44:45], v[80:81], -0.5, v[44:45]
	v_add_f64 v[2:3], v[2:3], v[6:7]
	v_fma_f64 v[46:47], v[82:83], -0.5, v[46:47]
	v_add_f64 v[78:79], v[70:71], -v[74:75]
	v_fma_f64 v[52:53], v[84:85], -0.5, v[52:53]
	v_add_f64 v[84:85], v[58:59], -v[62:63]
	v_fma_f64 v[54:55], v[88:89], -0.5, v[54:55]
	v_add_f64 v[88:89], v[56:57], -v[60:61]
	v_fma_f64 v[92:93], v[92:93], -0.5, v[40:41]
	v_add_f64 v[40:41], v[102:103], v[72:73]
	v_fma_f64 v[4:5], v[94:95], -0.5, v[42:43]
	v_add_f64 v[42:43], v[176:177], v[74:75]
	v_add_f64 v[72:73], v[178:179], v[60:61]
	;; [unrolled: 1-line block ×5, first 2 shown]
	v_fma_f64 v[60:61], v[90:91], s[2:3], v[48:49]
	v_fma_f64 v[62:63], v[96:97], s[6:7], v[50:51]
	;; [unrolled: 1-line block ×16, first 2 shown]
	ds_write_b128 v235, v[0:3]
	ds_write_b128 v235, v[60:63] offset:480
	ds_write_b128 v235, v[64:67] offset:960
	ds_write_b128 v237, v[56:59]
	ds_write_b128 v237, v[68:71] offset:480
	ds_write_b128 v237, v[80:83] offset:960
	buffer_load_dword v0, off, s[24:27], 0 offset:80 ; 4-byte Folded Reload
	s_waitcnt vmcnt(0)
	ds_write_b128 v0, v[40:43]
	ds_write_b128 v0, v[44:47] offset:480
	ds_write_b128 v0, v[48:51] offset:960
	s_and_saveexec_b32 s1, vcc_lo
	s_cbranch_execz .LBB0_25
; %bb.24:
	buffer_load_dword v1, off, s[24:27], 0 offset:76 ; 4-byte Folded Reload
	v_mov_b32_e32 v0, 4
	s_waitcnt vmcnt(0)
	v_lshlrev_b32_sdwa v0, v0, v1 dst_sel:DWORD dst_unused:UNUSED_PAD src0_sel:DWORD src1_sel:WORD_0
	ds_write_b128 v0, v[72:75]
	ds_write_b128 v0, v[52:55] offset:480
	ds_write_b128 v0, v[76:79] offset:960
.LBB0_25:
	s_or_b32 exec_lo, exec_lo, s1
	s_waitcnt lgkmcnt(0)
	s_barrier
	buffer_gl0_inv
	ds_read_b128 v[56:59], v226
	ds_read_b128 v[60:63], v226 offset:4320
	ds_read_b128 v[64:67], v226 offset:8640
	;; [unrolled: 1-line block ×5, first 2 shown]
	s_and_saveexec_b32 s1, s0
	s_cbranch_execz .LBB0_27
; %bb.26:
	ds_read_b128 v[40:43], v226 offset:2592
	ds_read_b128 v[44:47], v226 offset:6912
	;; [unrolled: 1-line block ×6, first 2 shown]
.LBB0_27:
	s_or_b32 exec_lo, exec_lo, s1
	s_waitcnt lgkmcnt(2)
	v_mul_f64 v[0:1], v[134:135], v[80:81]
	s_waitcnt lgkmcnt(0)
	v_mul_f64 v[2:3], v[138:139], v[84:85]
	v_mul_f64 v[4:5], v[130:131], v[72:73]
	;; [unrolled: 1-line block ×13, first 2 shown]
	s_mov_b32 s6, s2
	s_barrier
	buffer_gl0_inv
	v_fma_f64 v[0:1], v[132:133], v[82:83], -v[0:1]
	v_fma_f64 v[2:3], v[136:137], v[86:87], -v[2:3]
	v_mul_f64 v[82:83], v[106:107], v[44:45]
	v_mul_f64 v[86:87], v[130:131], v[74:75]
	v_fma_f64 v[4:5], v[128:129], v[74:75], -v[4:5]
	v_fma_f64 v[6:7], v[140:141], v[78:79], -v[6:7]
	v_mul_f64 v[74:75], v[126:127], v[66:67]
	v_mul_f64 v[78:79], v[126:127], v[64:65]
	v_fma_f64 v[10:11], v[132:133], v[80:81], v[10:11]
	v_fma_f64 v[80:81], v[136:137], v[84:85], v[88:89]
	v_fma_f64 v[8:9], v[116:117], v[62:63], -v[8:9]
	v_mul_f64 v[84:85], v[114:115], v[50:51]
	v_mul_f64 v[88:89], v[114:115], v[48:49]
	v_fma_f64 v[76:77], v[140:141], v[76:77], v[90:91]
	v_fma_f64 v[68:69], v[120:121], v[68:69], v[92:93]
	v_fma_f64 v[70:71], v[120:121], v[70:71], -v[94:95]
	v_fma_f64 v[60:61], v[116:117], v[60:61], v[96:97]
	v_fma_f64 v[52:53], v[108:109], v[52:53], v[100:101]
	v_fma_f64 v[54:55], v[108:109], v[54:55], -v[102:103]
	v_fma_f64 v[44:45], v[104:105], v[44:45], v[98:99]
	v_add_f64 v[62:63], v[0:1], v[2:3]
	v_fma_f64 v[46:47], v[104:105], v[46:47], -v[82:83]
	v_fma_f64 v[72:73], v[128:129], v[72:73], v[86:87]
	v_add_f64 v[96:97], v[0:1], -v[2:3]
	v_add_f64 v[82:83], v[4:5], v[6:7]
	v_fma_f64 v[64:65], v[124:125], v[64:65], v[74:75]
	v_fma_f64 v[66:67], v[124:125], v[66:67], -v[78:79]
	v_add_f64 v[100:101], v[4:5], -v[6:7]
	v_add_f64 v[74:75], v[10:11], v[80:81]
	v_add_f64 v[78:79], v[10:11], -v[80:81]
	v_fma_f64 v[48:49], v[112:113], v[48:49], v[84:85]
	v_fma_f64 v[50:51], v[112:113], v[50:51], -v[88:89]
	v_add_f64 v[0:1], v[8:9], v[0:1]
	v_add_f64 v[10:11], v[60:61], v[10:11]
	v_fma_f64 v[62:63], v[62:63], -0.5, v[8:9]
	v_add_f64 v[4:5], v[46:47], v[4:5]
	v_add_f64 v[84:85], v[72:73], v[76:77]
	v_add_f64 v[86:87], v[72:73], -v[76:77]
	v_fma_f64 v[82:83], v[82:83], -0.5, v[46:47]
	v_add_f64 v[88:89], v[56:57], v[64:65]
	v_add_f64 v[90:91], v[64:65], v[68:69]
	v_add_f64 v[92:93], v[66:67], -v[70:71]
	v_add_f64 v[94:95], v[58:59], v[66:67]
	v_add_f64 v[66:67], v[66:67], v[70:71]
	v_fma_f64 v[74:75], v[74:75], -0.5, v[60:61]
	v_add_f64 v[60:61], v[48:49], v[52:53]
	v_add_f64 v[64:65], v[64:65], -v[68:69]
	v_add_f64 v[102:103], v[50:51], -v[54:55]
	v_add_f64 v[10:11], v[10:11], v[80:81]
	v_add_f64 v[80:81], v[0:1], v[2:3]
	v_fma_f64 v[98:99], v[78:79], s[6:7], v[62:63]
	v_fma_f64 v[62:63], v[78:79], s[2:3], v[62:63]
	v_add_f64 v[78:79], v[50:51], v[54:55]
	v_fma_f64 v[84:85], v[84:85], -0.5, v[44:45]
	v_fma_f64 v[8:9], v[86:87], s[6:7], v[82:83]
	v_fma_f64 v[82:83], v[86:87], s[2:3], v[82:83]
	v_add_f64 v[86:87], v[40:41], v[48:49]
	v_add_f64 v[50:51], v[42:43], v[50:51]
	v_add_f64 v[48:49], v[48:49], -v[52:53]
	v_add_f64 v[44:45], v[44:45], v[72:73]
	v_add_f64 v[46:47], v[88:89], v[68:69]
	v_fma_f64 v[68:69], v[90:91], -0.5, v[56:57]
	v_add_f64 v[88:89], v[94:95], v[70:71]
	v_fma_f64 v[58:59], v[66:67], -0.5, v[58:59]
	v_fma_f64 v[66:67], v[96:97], s[2:3], v[74:75]
	v_fma_f64 v[70:71], v[96:97], s[6:7], v[74:75]
	v_fma_f64 v[40:41], v[60:61], -0.5, v[40:41]
	v_mul_f64 v[72:73], v[98:99], s[2:3]
	v_mul_f64 v[74:75], v[62:63], s[2:3]
	v_mul_f64 v[90:91], v[98:99], 0.5
	v_mul_f64 v[94:95], v[62:63], -0.5
	v_fma_f64 v[42:43], v[78:79], -0.5, v[42:43]
	v_fma_f64 v[78:79], v[100:101], s[2:3], v[84:85]
	v_fma_f64 v[84:85], v[100:101], s[6:7], v[84:85]
	v_mul_f64 v[96:97], v[8:9], s[2:3]
	v_mul_f64 v[98:99], v[82:83], s[2:3]
	v_mul_f64 v[8:9], v[8:9], 0.5
	v_mul_f64 v[82:83], v[82:83], -0.5
	v_add_f64 v[52:53], v[86:87], v[52:53]
	v_add_f64 v[56:57], v[50:51], v[54:55]
	;; [unrolled: 1-line block ×4, first 2 shown]
	v_fma_f64 v[4:5], v[92:93], s[2:3], v[68:69]
	v_fma_f64 v[6:7], v[92:93], s[6:7], v[68:69]
	v_fma_f64 v[44:45], v[64:65], s[6:7], v[58:59]
	v_fma_f64 v[50:51], v[64:65], s[2:3], v[58:59]
	v_fma_f64 v[58:59], v[102:103], s[2:3], v[40:41]
	v_fma_f64 v[60:61], v[102:103], s[6:7], v[40:41]
	v_add_f64 v[0:1], v[46:47], v[10:11]
	v_fma_f64 v[92:93], v[66:67], 0.5, v[72:73]
	v_fma_f64 v[100:101], v[70:71], -0.5, v[74:75]
	v_fma_f64 v[90:91], v[66:67], s[6:7], v[90:91]
	v_fma_f64 v[94:95], v[70:71], s[6:7], v[94:95]
	;; [unrolled: 1-line block ×4, first 2 shown]
	v_add_f64 v[2:3], v[88:89], v[80:81]
	v_fma_f64 v[64:65], v[78:79], 0.5, v[96:97]
	v_fma_f64 v[66:67], v[84:85], -0.5, v[98:99]
	v_fma_f64 v[72:73], v[78:79], s[6:7], v[8:9]
	v_fma_f64 v[74:75], v[84:85], s[6:7], v[82:83]
	v_add_f64 v[76:77], v[46:47], -v[10:11]
	v_add_f64 v[78:79], v[88:89], -v[80:81]
	;; [unrolled: 1-line block ×4, first 2 shown]
	v_add_f64 v[80:81], v[4:5], v[92:93]
	v_add_f64 v[84:85], v[6:7], v[100:101]
	;; [unrolled: 1-line block ×4, first 2 shown]
	v_add_f64 v[90:91], v[44:45], -v[90:91]
	v_add_f64 v[94:95], v[50:51], -v[94:95]
	;; [unrolled: 1-line block ×8, first 2 shown]
	ds_write_b128 v236, v[0:3]
	ds_write_b128 v236, v[76:79] offset:4320
	ds_write_b128 v236, v[80:83] offset:1440
	ds_write_b128 v236, v[84:87] offset:2880
	ds_write_b128 v236, v[88:91] offset:5760
	ds_write_b128 v236, v[92:95] offset:7200
	s_and_saveexec_b32 s1, s0
	s_cbranch_execz .LBB0_29
; %bb.28:
	buffer_load_dword v5, off, s[24:27], 0 offset:84 ; 4-byte Folded Reload
	v_add_f64 v[56:57], v[56:57], v[62:63]
	v_add_f64 v[54:55], v[52:53], v[54:55]
	;; [unrolled: 1-line block ×6, first 2 shown]
	v_mov_b32_e32 v4, 4
	s_waitcnt vmcnt(0)
	v_lshlrev_b32_sdwa v4, v4, v5 dst_sel:DWORD dst_unused:UNUSED_PAD src0_sel:DWORD src1_sel:WORD_0
	ds_write_b128 v4, v[40:43] offset:4320
	ds_write_b128 v4, v[44:47] offset:5760
	ds_write_b128 v4, v[54:57]
	ds_write_b128 v4, v[68:71] offset:1440
	ds_write_b128 v4, v[0:3] offset:2880
	;; [unrolled: 1-line block ×3, first 2 shown]
.LBB0_29:
	s_or_b32 exec_lo, exec_lo, s1
	s_waitcnt lgkmcnt(0)
	s_barrier
	buffer_gl0_inv
	ds_read_b128 v[60:63], v226
	ds_read_b128 v[52:55], v226 offset:2592
	ds_read_b128 v[76:79], v226 offset:17280
	;; [unrolled: 1-line block ×8, first 2 shown]
	s_and_saveexec_b32 s0, vcc_lo
	s_cbranch_execz .LBB0_31
; %bb.30:
	ds_read_b128 v[40:43], v226 offset:7776
	ds_read_b128 v[44:47], v226 offset:16416
	;; [unrolled: 1-line block ×3, first 2 shown]
.LBB0_31:
	s_or_b32 exec_lo, exec_lo, s0
	s_waitcnt lgkmcnt(4)
	v_mul_f64 v[0:1], v[146:147], v[86:87]
	v_mul_f64 v[2:3], v[150:151], v[78:79]
	;; [unrolled: 1-line block ×4, first 2 shown]
	s_waitcnt lgkmcnt(2)
	v_mul_f64 v[8:9], v[162:163], v[82:83]
	v_mul_f64 v[10:11], v[166:167], v[66:67]
	;; [unrolled: 1-line block ×4, first 2 shown]
	s_waitcnt lgkmcnt(1)
	v_mul_f64 v[92:93], v[170:171], v[70:71]
	s_waitcnt lgkmcnt(0)
	v_mul_f64 v[94:95], v[174:175], v[74:75]
	v_mul_f64 v[96:97], v[170:171], v[68:69]
	v_mul_f64 v[98:99], v[174:175], v[72:73]
	s_mov_b32 s0, 0xe8584caa
	s_mov_b32 s1, 0xbfebb67a
	;; [unrolled: 1-line block ×4, first 2 shown]
	v_fma_f64 v[0:1], v[144:145], v[84:85], v[0:1]
	v_fma_f64 v[2:3], v[148:149], v[76:77], v[2:3]
	v_fma_f64 v[4:5], v[144:145], v[86:87], -v[4:5]
	v_fma_f64 v[6:7], v[148:149], v[78:79], -v[6:7]
	v_fma_f64 v[8:9], v[160:161], v[80:81], v[8:9]
	v_fma_f64 v[10:11], v[164:165], v[64:65], v[10:11]
	v_fma_f64 v[64:65], v[160:161], v[82:83], -v[88:89]
	v_fma_f64 v[66:67], v[164:165], v[66:67], -v[90:91]
	;; [unrolled: 4-line block ×3, first 2 shown]
	v_add_f64 v[88:89], v[60:61], v[0:1]
	v_add_f64 v[76:77], v[0:1], v[2:3]
	v_add_f64 v[100:101], v[0:1], -v[2:3]
	v_add_f64 v[78:79], v[4:5], v[6:7]
	v_add_f64 v[90:91], v[4:5], -v[6:7]
	v_add_f64 v[80:81], v[8:9], v[10:11]
	v_add_f64 v[4:5], v[62:63], v[4:5]
	;; [unrolled: 1-line block ×9, first 2 shown]
	v_add_f64 v[102:103], v[64:65], -v[66:67]
	v_add_f64 v[8:9], v[8:9], -v[10:11]
	;; [unrolled: 1-line block ×4, first 2 shown]
	v_add_f64 v[0:1], v[88:89], v[2:3]
	v_fma_f64 v[76:77], v[76:77], -0.5, v[60:61]
	v_fma_f64 v[78:79], v[78:79], -0.5, v[62:63]
	;; [unrolled: 1-line block ×3, first 2 shown]
	v_add_f64 v[2:3], v[4:5], v[6:7]
	v_fma_f64 v[82:83], v[82:83], -0.5, v[54:55]
	v_add_f64 v[52:53], v[92:93], v[10:11]
	v_fma_f64 v[84:85], v[84:85], -0.5, v[56:57]
	;; [unrolled: 2-line block ×3, first 2 shown]
	v_add_f64 v[56:57], v[96:97], v[72:73]
	v_add_f64 v[58:59], v[98:99], v[74:75]
	v_fma_f64 v[60:61], v[90:91], s[0:1], v[76:77]
	v_fma_f64 v[64:65], v[90:91], s[2:3], v[76:77]
	;; [unrolled: 1-line block ×12, first 2 shown]
	ds_write_b128 v226, v[0:3]
	ds_write_b128 v226, v[52:55] offset:2592
	ds_write_b128 v226, v[56:59] offset:5184
	;; [unrolled: 1-line block ×8, first 2 shown]
	s_and_saveexec_b32 s6, vcc_lo
	s_cbranch_execz .LBB0_33
; %bb.32:
	v_mul_f64 v[0:1], v[154:155], v[44:45]
	v_mul_f64 v[2:3], v[158:159], v[48:49]
	;; [unrolled: 1-line block ×4, first 2 shown]
	v_fma_f64 v[0:1], v[152:153], v[46:47], -v[0:1]
	v_fma_f64 v[2:3], v[156:157], v[50:51], -v[2:3]
	v_fma_f64 v[4:5], v[152:153], v[44:45], v[4:5]
	v_fma_f64 v[6:7], v[156:157], v[48:49], v[6:7]
	v_add_f64 v[46:47], v[42:43], v[0:1]
	v_add_f64 v[8:9], v[0:1], v[2:3]
	v_add_f64 v[48:49], v[0:1], -v[2:3]
	v_add_f64 v[10:11], v[4:5], v[6:7]
	v_add_f64 v[44:45], v[4:5], -v[6:7]
	v_add_f64 v[4:5], v[40:41], v[4:5]
	v_add_f64 v[2:3], v[46:47], v[2:3]
	v_fma_f64 v[8:9], v[8:9], -0.5, v[42:43]
	v_fma_f64 v[10:11], v[10:11], -0.5, v[40:41]
	v_add_f64 v[0:1], v[4:5], v[6:7]
	v_fma_f64 v[42:43], v[44:45], s[0:1], v[8:9]
	v_fma_f64 v[46:47], v[44:45], s[2:3], v[8:9]
	v_fma_f64 v[44:45], v[48:49], s[0:1], v[10:11]
	v_fma_f64 v[40:41], v[48:49], s[2:3], v[10:11]
	ds_write_b128 v226, v[0:3] offset:7776
	ds_write_b128 v226, v[44:47] offset:16416
	;; [unrolled: 1-line block ×3, first 2 shown]
.LBB0_33:
	s_or_b32 exec_lo, exec_lo, s6
	s_waitcnt lgkmcnt(0)
	s_barrier
	buffer_gl0_inv
	ds_read_b128 v[0:3], v226
	ds_read_b128 v[40:43], v226 offset:2592
	s_clause 0x5
	buffer_load_dword v4, off, s[24:27], 0
	buffer_load_dword v5, off, s[24:27], 0 offset:4
	buffer_load_dword v82, off, s[24:27], 0 offset:8
	;; [unrolled: 1-line block ×5, first 2 shown]
	ds_read_b128 v[44:47], v226 offset:5184
	ds_read_b128 v[48:51], v226 offset:7776
	;; [unrolled: 1-line block ×8, first 2 shown]
	s_clause 0x7
	buffer_load_dword v96, off, s[24:27], 0 offset:40
	buffer_load_dword v97, off, s[24:27], 0 offset:44
	;; [unrolled: 1-line block ×8, first 2 shown]
	v_mad_u64_u32 v[6:7], null, s8, v225, 0
	s_mov_b32 s0, 0x30abee4d
	s_mov_b32 s1, 0x3f443a27
	s_mul_i32 s3, s9, 0xa20
	s_mul_hi_u32 s6, s8, 0xa20
	s_mul_i32 s2, s8, 0xa20
	s_add_i32 s6, s6, s3
	s_waitcnt lgkmcnt(8)
	v_mul_f64 v[76:77], v[38:39], v[42:43]
	v_mul_f64 v[38:39], v[38:39], v[40:41]
	s_waitcnt lgkmcnt(2)
	v_mul_f64 v[86:87], v[26:27], v[66:67]
	v_mul_f64 v[26:27], v[26:27], v[64:65]
	;; [unrolled: 3-line block ×4, first 2 shown]
	s_waitcnt vmcnt(13)
	v_mov_b32_e32 v78, v4
	s_waitcnt vmcnt(8)
	v_mul_f64 v[8:9], v[84:85], v[2:3]
	v_mul_f64 v[10:11], v[84:85], v[0:1]
	;; [unrolled: 1-line block ×4, first 2 shown]
	v_mad_u64_u32 v[4:5], null, s10, v78, 0
	v_mad_u64_u32 v[78:79], null, s11, v78, v[5:6]
	v_mov_b32_e32 v5, v78
	v_mad_u64_u32 v[79:80], null, s9, v225, v[7:8]
	v_fma_f64 v[0:1], v[82:83], v[0:1], v[8:9]
	v_fma_f64 v[8:9], v[36:37], v[40:41], v[76:77]
	v_fma_f64 v[2:3], v[82:83], v[2:3], -v[10:11]
	v_mul_f64 v[80:81], v[22:23], v[46:47]
	v_mul_f64 v[22:23], v[22:23], v[44:45]
	v_fma_f64 v[10:11], v[36:37], v[42:43], -v[38:39]
	v_mul_f64 v[36:37], v[18:19], v[50:51]
	v_mul_f64 v[38:39], v[18:19], v[48:49]
	v_lshlrev_b64 v[4:5], 4, v[4:5]
	s_waitcnt vmcnt(4)
	v_mul_f64 v[40:41], v[98:99], v[54:55]
	v_mul_f64 v[42:43], v[98:99], v[52:53]
	s_waitcnt vmcnt(0)
	v_mul_f64 v[76:77], v[94:95], v[58:59]
	v_mul_f64 v[82:83], v[94:95], v[56:57]
	v_mov_b32_e32 v7, v79
	v_lshlrev_b64 v[6:7], 4, v[6:7]
	v_mul_f64 v[0:1], v[0:1], s[0:1]
	v_mul_f64 v[18:19], v[8:9], s[0:1]
	v_add_co_u32 v8, vcc_lo, s4, v4
	v_mul_f64 v[2:3], v[2:3], s[0:1]
	v_fma_f64 v[44:45], v[20:21], v[44:45], v[80:81]
	v_fma_f64 v[22:23], v[20:21], v[46:47], -v[22:23]
	v_mul_f64 v[20:21], v[10:11], s[0:1]
	v_add_co_ci_u32_e32 v9, vcc_lo, s5, v5, vcc_lo
	v_fma_f64 v[4:5], v[16:17], v[48:49], v[36:37]
	v_fma_f64 v[10:11], v[16:17], v[50:51], -v[38:39]
	v_add_co_u32 v16, vcc_lo, v8, v6
	v_add_co_ci_u32_e32 v17, vcc_lo, v9, v7, vcc_lo
	v_fma_f64 v[38:39], v[96:97], v[52:53], v[40:41]
	v_add_co_u32 v36, vcc_lo, v16, s2
	v_add_co_ci_u32_e32 v37, vcc_lo, s6, v17, vcc_lo
	v_fma_f64 v[40:41], v[96:97], v[54:55], -v[42:43]
	global_store_dwordx4 v[16:17], v[0:3], off
	global_store_dwordx4 v[36:37], v[18:21], off
	v_fma_f64 v[16:17], v[92:93], v[56:57], v[76:77]
	v_fma_f64 v[18:19], v[92:93], v[58:59], -v[82:83]
	v_fma_f64 v[20:21], v[12:13], v[62:63], -v[14:15]
	v_mul_f64 v[0:1], v[4:5], s[0:1]
	v_fma_f64 v[4:5], v[12:13], v[60:61], v[84:85]
	v_mul_f64 v[8:9], v[22:23], s[0:1]
	v_fma_f64 v[22:23], v[24:25], v[64:65], v[86:87]
	v_fma_f64 v[24:25], v[24:25], v[66:67], -v[26:27]
	v_fma_f64 v[26:27], v[28:29], v[68:69], v[88:89]
	v_fma_f64 v[28:29], v[28:29], v[70:71], -v[30:31]
	;; [unrolled: 2-line block ×3, first 2 shown]
	v_add_co_u32 v36, vcc_lo, v36, s2
	v_add_co_ci_u32_e32 v37, vcc_lo, s6, v37, vcc_lo
	v_mul_f64 v[6:7], v[44:45], s[0:1]
	v_add_co_u32 v34, vcc_lo, v36, s2
	v_add_co_ci_u32_e32 v35, vcc_lo, s6, v37, vcc_lo
	v_mul_f64 v[2:3], v[10:11], s[0:1]
	v_mul_f64 v[10:11], v[38:39], s[0:1]
	v_add_co_u32 v38, vcc_lo, v34, s2
	v_add_co_ci_u32_e32 v39, vcc_lo, s6, v35, vcc_lo
	v_mul_f64 v[12:13], v[40:41], s[0:1]
	v_add_co_u32 v40, vcc_lo, v38, s2
	v_mul_f64 v[14:15], v[16:17], s[0:1]
	v_mul_f64 v[16:17], v[18:19], s[0:1]
	v_add_co_ci_u32_e32 v41, vcc_lo, s6, v39, vcc_lo
	v_mul_f64 v[18:19], v[4:5], s[0:1]
	v_mul_f64 v[20:21], v[20:21], s[0:1]
	;; [unrolled: 1-line block ×8, first 2 shown]
	v_add_co_u32 v4, vcc_lo, v40, s2
	v_add_co_ci_u32_e32 v5, vcc_lo, s6, v41, vcc_lo
	global_store_dwordx4 v[36:37], v[6:9], off
	v_add_co_u32 v6, vcc_lo, v4, s2
	v_add_co_ci_u32_e32 v7, vcc_lo, s6, v5, vcc_lo
	global_store_dwordx4 v[34:35], v[0:3], off
	;; [unrolled: 3-line block ×4, first 2 shown]
	global_store_dwordx4 v[4:5], v[18:21], off
	global_store_dwordx4 v[6:7], v[22:25], off
	;; [unrolled: 1-line block ×4, first 2 shown]
.LBB0_34:
	s_endpgm
	.section	.rodata,"a",@progbits
	.p2align	6, 0x0
	.amdhsa_kernel bluestein_single_back_len1620_dim1_dp_op_CI_CI
		.amdhsa_group_segment_fixed_size 25920
		.amdhsa_private_segment_fixed_size 92
		.amdhsa_kernarg_size 104
		.amdhsa_user_sgpr_count 6
		.amdhsa_user_sgpr_private_segment_buffer 1
		.amdhsa_user_sgpr_dispatch_ptr 0
		.amdhsa_user_sgpr_queue_ptr 0
		.amdhsa_user_sgpr_kernarg_segment_ptr 1
		.amdhsa_user_sgpr_dispatch_id 0
		.amdhsa_user_sgpr_flat_scratch_init 0
		.amdhsa_user_sgpr_private_segment_size 0
		.amdhsa_wavefront_size32 1
		.amdhsa_uses_dynamic_stack 0
		.amdhsa_system_sgpr_private_segment_wavefront_offset 1
		.amdhsa_system_sgpr_workgroup_id_x 1
		.amdhsa_system_sgpr_workgroup_id_y 0
		.amdhsa_system_sgpr_workgroup_id_z 0
		.amdhsa_system_sgpr_workgroup_info 0
		.amdhsa_system_vgpr_workitem_id 0
		.amdhsa_next_free_vgpr 256
		.amdhsa_next_free_sgpr 28
		.amdhsa_reserve_vcc 1
		.amdhsa_reserve_flat_scratch 0
		.amdhsa_float_round_mode_32 0
		.amdhsa_float_round_mode_16_64 0
		.amdhsa_float_denorm_mode_32 3
		.amdhsa_float_denorm_mode_16_64 3
		.amdhsa_dx10_clamp 1
		.amdhsa_ieee_mode 1
		.amdhsa_fp16_overflow 0
		.amdhsa_workgroup_processor_mode 1
		.amdhsa_memory_ordered 1
		.amdhsa_forward_progress 0
		.amdhsa_shared_vgpr_count 0
		.amdhsa_exception_fp_ieee_invalid_op 0
		.amdhsa_exception_fp_denorm_src 0
		.amdhsa_exception_fp_ieee_div_zero 0
		.amdhsa_exception_fp_ieee_overflow 0
		.amdhsa_exception_fp_ieee_underflow 0
		.amdhsa_exception_fp_ieee_inexact 0
		.amdhsa_exception_int_div_zero 0
	.end_amdhsa_kernel
	.text
.Lfunc_end0:
	.size	bluestein_single_back_len1620_dim1_dp_op_CI_CI, .Lfunc_end0-bluestein_single_back_len1620_dim1_dp_op_CI_CI
                                        ; -- End function
	.section	.AMDGPU.csdata,"",@progbits
; Kernel info:
; codeLenInByte = 16440
; NumSgprs: 30
; NumVgprs: 256
; ScratchSize: 92
; MemoryBound: 0
; FloatMode: 240
; IeeeMode: 1
; LDSByteSize: 25920 bytes/workgroup (compile time only)
; SGPRBlocks: 3
; VGPRBlocks: 31
; NumSGPRsForWavesPerEU: 30
; NumVGPRsForWavesPerEU: 256
; Occupancy: 4
; WaveLimiterHint : 1
; COMPUTE_PGM_RSRC2:SCRATCH_EN: 1
; COMPUTE_PGM_RSRC2:USER_SGPR: 6
; COMPUTE_PGM_RSRC2:TRAP_HANDLER: 0
; COMPUTE_PGM_RSRC2:TGID_X_EN: 1
; COMPUTE_PGM_RSRC2:TGID_Y_EN: 0
; COMPUTE_PGM_RSRC2:TGID_Z_EN: 0
; COMPUTE_PGM_RSRC2:TIDIG_COMP_CNT: 0
	.text
	.p2alignl 6, 3214868480
	.fill 48, 4, 3214868480
	.type	__hip_cuid_3acaf3966a8c3486,@object ; @__hip_cuid_3acaf3966a8c3486
	.section	.bss,"aw",@nobits
	.globl	__hip_cuid_3acaf3966a8c3486
__hip_cuid_3acaf3966a8c3486:
	.byte	0                               ; 0x0
	.size	__hip_cuid_3acaf3966a8c3486, 1

	.ident	"AMD clang version 19.0.0git (https://github.com/RadeonOpenCompute/llvm-project roc-6.4.0 25133 c7fe45cf4b819c5991fe208aaa96edf142730f1d)"
	.section	".note.GNU-stack","",@progbits
	.addrsig
	.addrsig_sym __hip_cuid_3acaf3966a8c3486
	.amdgpu_metadata
---
amdhsa.kernels:
  - .args:
      - .actual_access:  read_only
        .address_space:  global
        .offset:         0
        .size:           8
        .value_kind:     global_buffer
      - .actual_access:  read_only
        .address_space:  global
        .offset:         8
        .size:           8
        .value_kind:     global_buffer
      - .actual_access:  read_only
        .address_space:  global
        .offset:         16
        .size:           8
        .value_kind:     global_buffer
      - .actual_access:  read_only
        .address_space:  global
        .offset:         24
        .size:           8
        .value_kind:     global_buffer
      - .actual_access:  read_only
        .address_space:  global
        .offset:         32
        .size:           8
        .value_kind:     global_buffer
      - .offset:         40
        .size:           8
        .value_kind:     by_value
      - .address_space:  global
        .offset:         48
        .size:           8
        .value_kind:     global_buffer
      - .address_space:  global
        .offset:         56
        .size:           8
        .value_kind:     global_buffer
      - .address_space:  global
        .offset:         64
        .size:           8
        .value_kind:     global_buffer
      - .address_space:  global
        .offset:         72
        .size:           8
        .value_kind:     global_buffer
      - .offset:         80
        .size:           4
        .value_kind:     by_value
      - .address_space:  global
        .offset:         88
        .size:           8
        .value_kind:     global_buffer
      - .address_space:  global
        .offset:         96
        .size:           8
        .value_kind:     global_buffer
    .group_segment_fixed_size: 25920
    .kernarg_segment_align: 8
    .kernarg_segment_size: 104
    .language:       OpenCL C
    .language_version:
      - 2
      - 0
    .max_flat_workgroup_size: 162
    .name:           bluestein_single_back_len1620_dim1_dp_op_CI_CI
    .private_segment_fixed_size: 92
    .sgpr_count:     30
    .sgpr_spill_count: 0
    .symbol:         bluestein_single_back_len1620_dim1_dp_op_CI_CI.kd
    .uniform_work_group_size: 1
    .uses_dynamic_stack: false
    .vgpr_count:     256
    .vgpr_spill_count: 22
    .wavefront_size: 32
    .workgroup_processor_mode: 1
amdhsa.target:   amdgcn-amd-amdhsa--gfx1030
amdhsa.version:
  - 1
  - 2
...

	.end_amdgpu_metadata
